;; amdgpu-corpus repo=ROCm/rocFFT kind=compiled arch=gfx1201 opt=O3
	.text
	.amdgcn_target "amdgcn-amd-amdhsa--gfx1201"
	.amdhsa_code_object_version 6
	.protected	bluestein_single_back_len819_dim1_dp_op_CI_CI ; -- Begin function bluestein_single_back_len819_dim1_dp_op_CI_CI
	.globl	bluestein_single_back_len819_dim1_dp_op_CI_CI
	.p2align	8
	.type	bluestein_single_back_len819_dim1_dp_op_CI_CI,@function
bluestein_single_back_len819_dim1_dp_op_CI_CI: ; @bluestein_single_back_len819_dim1_dp_op_CI_CI
; %bb.0:
	s_load_b128 s[8:11], s[0:1], 0x28
	v_mul_u32_u24_e32 v1, 0x231, v0
	s_mov_b32 s2, exec_lo
	v_mov_b32_e32 v125, 0
	s_delay_alu instid0(VALU_DEP_2) | instskip(NEXT) | instid1(VALU_DEP_1)
	v_lshrrev_b32_e32 v1, 16, v1
	v_add_nc_u32_e32 v124, ttmp9, v1
	s_wait_kmcnt 0x0
	s_delay_alu instid0(VALU_DEP_1)
	v_cmpx_gt_u64_e64 s[8:9], v[124:125]
	s_cbranch_execz .LBB0_23
; %bb.1:
	s_clause 0x1
	s_load_b64 s[12:13], s[0:1], 0x0
	s_load_b64 s[8:9], s[0:1], 0x38
	v_mul_lo_u16 v1, 0x75, v1
	s_delay_alu instid0(VALU_DEP_1) | instskip(NEXT) | instid1(VALU_DEP_1)
	v_sub_nc_u16 v0, v0, v1
	v_and_b32_e32 v205, 0xffff, v0
	v_cmp_gt_u16_e32 vcc_lo, 0x5b, v0
	s_delay_alu instid0(VALU_DEP_2)
	v_lshlrev_b32_e32 v206, 4, v205
	s_and_saveexec_b32 s3, vcc_lo
	s_cbranch_execz .LBB0_3
; %bb.2:
	s_load_b64 s[4:5], s[0:1], 0x18
	s_wait_kmcnt 0x0
	s_load_b128 s[4:7], s[4:5], 0x0
	s_wait_kmcnt 0x0
	v_mad_co_u64_u32 v[0:1], null, s6, v124, 0
	v_mad_co_u64_u32 v[2:3], null, s4, v205, 0
	s_delay_alu instid0(VALU_DEP_1) | instskip(NEXT) | instid1(VALU_DEP_1)
	v_mad_co_u64_u32 v[4:5], null, s7, v124, v[1:2]
	v_mad_co_u64_u32 v[5:6], null, s5, v205, v[3:4]
	v_mov_b32_e32 v1, v4
	s_mul_u64 s[4:5], s[4:5], 0x5b0
	s_delay_alu instid0(VALU_DEP_1) | instskip(NEXT) | instid1(VALU_DEP_3)
	v_lshlrev_b64_e32 v[0:1], 4, v[0:1]
	v_mov_b32_e32 v3, v5
	s_delay_alu instid0(VALU_DEP_2) | instskip(NEXT) | instid1(VALU_DEP_2)
	v_add_co_u32 v10, s2, s10, v0
	v_lshlrev_b64_e32 v[8:9], 4, v[2:3]
	s_delay_alu instid0(VALU_DEP_4)
	v_add_co_ci_u32_e64 v11, s2, s11, v1, s2
	s_clause 0x1
	global_load_b128 v[0:3], v206, s[12:13]
	global_load_b128 v[4:7], v206, s[12:13] offset:1456
	v_add_co_u32 v24, s2, v10, v8
	s_wait_alu 0xf1ff
	v_add_co_ci_u32_e64 v25, s2, v11, v9, s2
	s_clause 0x1
	global_load_b128 v[8:11], v206, s[12:13] offset:2912
	global_load_b128 v[12:15], v206, s[12:13] offset:4368
	s_wait_alu 0xfffe
	v_add_co_u32 v28, s2, v24, s4
	s_wait_alu 0xf1ff
	v_add_co_ci_u32_e64 v29, s2, s5, v25, s2
	s_clause 0x1
	global_load_b128 v[16:19], v206, s[12:13] offset:5824
	global_load_b128 v[20:23], v206, s[12:13] offset:7280
	v_add_co_u32 v32, s2, v28, s4
	s_wait_alu 0xf1ff
	v_add_co_ci_u32_e64 v33, s2, s5, v29, s2
	s_clause 0x1
	global_load_b128 v[24:27], v[24:25], off
	global_load_b128 v[28:31], v[28:29], off
	v_add_co_u32 v36, s2, v32, s4
	s_wait_alu 0xf1ff
	v_add_co_ci_u32_e64 v37, s2, s5, v33, s2
	s_delay_alu instid0(VALU_DEP_2) | instskip(SKIP_1) | instid1(VALU_DEP_2)
	v_add_co_u32 v40, s2, v36, s4
	s_wait_alu 0xf1ff
	v_add_co_ci_u32_e64 v41, s2, s5, v37, s2
	s_clause 0x1
	global_load_b128 v[32:35], v[32:33], off
	global_load_b128 v[36:39], v[36:37], off
	v_add_co_u32 v44, s2, v40, s4
	s_wait_alu 0xf1ff
	v_add_co_ci_u32_e64 v45, s2, s5, v41, s2
	global_load_b128 v[40:43], v[40:41], off
	v_add_co_u32 v48, s2, v44, s4
	s_wait_alu 0xf1ff
	v_add_co_ci_u32_e64 v49, s2, s5, v45, s2
	;; [unrolled: 4-line block ×4, first 2 shown]
	s_clause 0x1
	global_load_b128 v[52:55], v206, s[12:13] offset:8736
	global_load_b128 v[56:59], v206, s[12:13] offset:10192
	global_load_b128 v[60:63], v[60:61], off
	global_load_b128 v[64:67], v206, s[12:13] offset:11648
	global_load_b128 v[68:71], v[68:69], off
	s_wait_loadcnt 0xb
	v_mul_f64_e32 v[72:73], v[26:27], v[2:3]
	v_mul_f64_e32 v[2:3], v[24:25], v[2:3]
	s_wait_loadcnt 0xa
	v_mul_f64_e32 v[74:75], v[30:31], v[6:7]
	v_mul_f64_e32 v[6:7], v[28:29], v[6:7]
	;; [unrolled: 3-line block ×9, first 2 shown]
	v_fma_f64 v[22:23], v[24:25], v[0:1], v[72:73]
	v_fma_f64 v[24:25], v[26:27], v[0:1], -v[2:3]
	v_fma_f64 v[0:1], v[28:29], v[4:5], v[74:75]
	v_fma_f64 v[2:3], v[30:31], v[4:5], -v[6:7]
	;; [unrolled: 2-line block ×9, first 2 shown]
	ds_store_b128 v206, v[22:25]
	ds_store_b128 v206, v[0:3] offset:1456
	ds_store_b128 v206, v[4:7] offset:2912
	;; [unrolled: 1-line block ×8, first 2 shown]
.LBB0_3:
	s_or_b32 exec_lo, exec_lo, s3
	s_clause 0x1
	s_load_b64 s[4:5], s[0:1], 0x20
	s_load_b64 s[2:3], s[0:1], 0x8
	global_wb scope:SCOPE_SE
	s_wait_dscnt 0x0
	s_wait_kmcnt 0x0
	s_barrier_signal -1
	s_barrier_wait -1
	global_inv scope:SCOPE_SE
                                        ; implicit-def: $vgpr0_vgpr1
                                        ; implicit-def: $vgpr24_vgpr25
                                        ; implicit-def: $vgpr16_vgpr17
                                        ; implicit-def: $vgpr12_vgpr13
                                        ; implicit-def: $vgpr4_vgpr5
                                        ; implicit-def: $vgpr8_vgpr9
                                        ; implicit-def: $vgpr20_vgpr21
                                        ; implicit-def: $vgpr28_vgpr29
                                        ; implicit-def: $vgpr32_vgpr33
	s_and_saveexec_b32 s0, vcc_lo
	s_cbranch_execz .LBB0_5
; %bb.4:
	ds_load_b128 v[0:3], v206
	ds_load_b128 v[24:27], v206 offset:1456
	ds_load_b128 v[16:19], v206 offset:2912
	ds_load_b128 v[12:15], v206 offset:4368
	ds_load_b128 v[4:7], v206 offset:5824
	ds_load_b128 v[8:11], v206 offset:7280
	ds_load_b128 v[20:23], v206 offset:8736
	ds_load_b128 v[28:31], v206 offset:10192
	ds_load_b128 v[32:35], v206 offset:11648
.LBB0_5:
	s_wait_alu 0xfffe
	s_or_b32 exec_lo, exec_lo, s0
	s_wait_dscnt 0x0
	v_add_f64_e64 v[38:39], v[24:25], -v[32:33]
	v_add_f64_e64 v[36:37], v[26:27], -v[34:35]
	v_add_f64_e32 v[24:25], v[24:25], v[32:33]
	v_add_f64_e32 v[26:27], v[26:27], v[34:35]
	v_add_f64_e64 v[34:35], v[4:5], -v[8:9]
	v_add_f64_e64 v[32:33], v[6:7], -v[10:11]
	v_add_f64_e32 v[40:41], v[4:5], v[8:9]
	v_add_f64_e32 v[42:43], v[6:7], v[10:11]
	s_mov_b32 s18, 0xa2cf5039
	s_mov_b32 s11, 0x3fe491b7
	;; [unrolled: 1-line block ×4, first 2 shown]
	v_add_f64_e32 v[44:45], v[16:17], v[28:29]
	v_add_f64_e32 v[50:51], v[18:19], v[30:31]
	v_add_f64_e64 v[28:29], v[16:17], -v[28:29]
	v_add_f64_e64 v[30:31], v[18:19], -v[30:31]
	s_mov_b32 s22, 0x8c811c17
	s_mov_b32 s20, 0x7e0b738b
	;; [unrolled: 1-line block ×4, first 2 shown]
	v_add_f64_e32 v[46:47], v[12:13], v[20:21]
	v_add_f64_e32 v[48:49], v[14:15], v[22:23]
	v_add_f64_e64 v[20:21], v[12:13], -v[20:21]
	v_add_f64_e64 v[22:23], v[14:15], -v[22:23]
	s_mov_b32 s0, 0xe8584cab
	s_mov_b32 s1, 0x3febb67a
	;; [unrolled: 1-line block ×3, first 2 shown]
	s_wait_alu 0xfffe
	s_mov_b32 s6, s0
	s_mov_b32 s14, 0x748a0bf8
	;; [unrolled: 1-line block ×5, first 2 shown]
	v_mul_lo_u16 v207, v205, 9
	global_wb scope:SCOPE_SE
	s_barrier_signal -1
	s_barrier_wait -1
	global_inv scope:SCOPE_SE
	v_mul_f64_e32 v[16:17], s[10:11], v[38:39]
	v_mul_f64_e32 v[18:19], s[10:11], v[36:37]
	v_fma_f64 v[52:53], v[24:25], s[18:19], v[0:1]
	v_fma_f64 v[54:55], v[26:27], s[18:19], v[2:3]
	v_mul_f64_e32 v[56:57], s[10:11], v[34:35]
	v_mul_f64_e32 v[58:59], s[10:11], v[32:33]
	v_fma_f64 v[60:61], v[40:41], s[18:19], v[0:1]
	v_fma_f64 v[62:63], v[42:43], s[18:19], v[2:3]
	;; [unrolled: 1-line block ×6, first 2 shown]
	v_fma_f64 v[52:53], v[38:39], s[22:23], -v[56:57]
	v_fma_f64 v[54:55], v[36:37], s[22:23], -v[58:59]
	v_fma_f64 v[56:57], v[24:25], s[20:21], v[60:61]
	v_fma_f64 v[58:59], v[26:27], s[20:21], v[62:63]
	;; [unrolled: 1-line block ×4, first 2 shown]
	v_fma_f64 v[16:17], v[46:47], -0.5, v[16:17]
	v_fma_f64 v[18:19], v[48:49], -0.5, v[18:19]
	s_wait_alu 0xfffe
	v_fma_f64 v[52:53], v[20:21], s[6:7], v[52:53]
	v_fma_f64 v[54:55], v[22:23], s[6:7], v[54:55]
	v_fma_f64 v[56:57], v[46:47], -0.5, v[56:57]
	v_fma_f64 v[58:59], v[48:49], -0.5, v[58:59]
	v_fma_f64 v[60:61], v[34:35], s[14:15], v[12:13]
	v_fma_f64 v[62:63], v[32:33], s[14:15], v[14:15]
	;; [unrolled: 1-line block ×8, first 2 shown]
	v_add_f64_e32 v[12:13], v[62:63], v[12:13]
	v_add_f64_e64 v[14:15], v[14:15], -v[60:61]
	s_delay_alu instid0(VALU_DEP_4) | instskip(NEXT) | instid1(VALU_DEP_4)
	v_add_f64_e32 v[16:17], v[16:17], v[54:55]
	v_add_f64_e64 v[18:19], v[18:19], -v[52:53]
	s_delay_alu instid0(VALU_DEP_4) | instskip(NEXT) | instid1(VALU_DEP_4)
	v_fma_f64 v[64:65], v[62:63], -2.0, v[12:13]
	v_fma_f64 v[66:67], v[60:61], 2.0, v[14:15]
	s_delay_alu instid0(VALU_DEP_4) | instskip(NEXT) | instid1(VALU_DEP_4)
	v_fma_f64 v[60:61], v[54:55], -2.0, v[16:17]
	v_fma_f64 v[62:63], v[52:53], 2.0, v[18:19]
	s_and_saveexec_b32 s24, vcc_lo
	s_cbranch_execz .LBB0_7
; %bb.6:
	v_mul_f64_e32 v[52:53], s[22:23], v[34:35]
	v_fma_f64 v[54:55], v[50:51], s[18:19], v[2:3]
	v_mul_f64_e32 v[56:57], s[22:23], v[32:33]
	v_fma_f64 v[58:59], v[44:45], s[18:19], v[0:1]
	v_add_f64_e32 v[50:51], v[50:51], v[26:27]
	v_add_f64_e32 v[44:45], v[44:45], v[24:25]
	s_mov_b32 s11, 0xbfe491b7
	v_mul_f64_e32 v[20:21], s[0:1], v[20:21]
	v_mul_f64_e32 v[22:23], s[0:1], v[22:23]
	v_mul_f64_e32 v[68:69], 0.5, v[46:47]
	v_mul_f64_e32 v[70:71], 0.5, v[48:49]
	v_add_f64_e32 v[72:73], v[2:3], v[48:49]
	v_add_f64_e32 v[74:75], v[0:1], v[46:47]
	;; [unrolled: 1-line block ×4, first 2 shown]
	s_wait_alu 0xfffe
	v_fma_f64 v[52:53], v[28:29], s[10:11], -v[52:53]
	v_fma_f64 v[54:55], v[42:43], s[20:21], v[54:55]
	v_fma_f64 v[56:57], v[30:31], s[10:11], -v[56:57]
	v_fma_f64 v[58:59], v[40:41], s[20:21], v[58:59]
	v_add_f64_e32 v[48:49], v[48:49], v[50:51]
	v_add_f64_e32 v[46:47], v[46:47], v[44:45]
	;; [unrolled: 1-line block ×4, first 2 shown]
	v_add_f64_e64 v[28:29], v[34:35], -v[28:29]
	v_add_f64_e64 v[30:31], v[32:33], -v[30:31]
	v_add_f64_e32 v[20:21], v[20:21], v[52:53]
	v_add_f64_e64 v[44:45], v[54:55], -v[70:71]
	v_add_f64_e32 v[22:23], v[22:23], v[56:57]
	;; [unrolled: 2-line block ×3, first 2 shown]
	v_add_f64_e32 v[4:5], v[4:5], v[46:47]
	v_fma_f64 v[32:33], v[42:43], -0.5, v[72:73]
	v_fma_f64 v[34:35], v[40:41], -0.5, v[74:75]
	v_fma_f64 v[38:39], v[38:39], s[14:15], v[20:21]
	v_fma_f64 v[20:21], v[26:27], s[16:17], v[44:45]
	;; [unrolled: 1-line block ×4, first 2 shown]
	v_add_f64_e32 v[40:41], v[10:11], v[6:7]
	v_add_f64_e32 v[42:43], v[8:9], v[4:5]
	v_mul_f64_e32 v[24:25], s[0:1], v[28:29]
	v_mul_f64_e32 v[26:27], s[0:1], v[30:31]
	v_fma_f64 v[6:7], v[28:29], s[6:7], v[32:33]
	v_fma_f64 v[4:5], v[30:31], s[0:1], v[34:35]
	v_and_b32_e32 v28, 0xffff, v207
	s_delay_alu instid0(VALU_DEP_1)
	v_lshlrev_b32_e32 v28, 4, v28
	v_add_f64_e64 v[10:11], v[20:21], -v[38:39]
	v_add_f64_e32 v[8:9], v[36:37], v[22:23]
	v_add_f64_e32 v[2:3], v[2:3], v[40:41]
	;; [unrolled: 1-line block ×3, first 2 shown]
	v_fma_f64 v[22:23], v[24:25], 2.0, v[6:7]
	v_fma_f64 v[20:21], v[26:27], -2.0, v[4:5]
	v_fma_f64 v[26:27], v[38:39], 2.0, v[10:11]
	v_fma_f64 v[24:25], v[36:37], -2.0, v[8:9]
	ds_store_b128 v28, v[16:19] offset:32
	ds_store_b128 v28, v[4:7] offset:48
	ds_store_b128 v28, v[0:3]
	ds_store_b128 v28, v[12:15] offset:16
	ds_store_b128 v28, v[20:23] offset:96
	;; [unrolled: 1-line block ×6, first 2 shown]
.LBB0_7:
	s_or_b32 exec_lo, exec_lo, s24
	v_and_b32_e32 v0, 0xff, v205
	s_load_b128 s[4:7], s[4:5], 0x0
	global_wb scope:SCOPE_SE
	s_wait_dscnt 0x0
	s_wait_kmcnt 0x0
	s_barrier_signal -1
	s_barrier_wait -1
	v_mul_lo_u16 v0, v0, 57
	global_inv scope:SCOPE_SE
	s_mov_b32 s0, 0x37e14327
	s_mov_b32 s1, 0x3fe948f6
	;; [unrolled: 1-line block ×3, first 2 shown]
	v_lshrrev_b16 v84, 9, v0
	s_mov_b32 s14, 0xe976ee23
	s_mov_b32 s11, 0x3fac98ee
	;; [unrolled: 1-line block ×4, first 2 shown]
	v_mul_lo_u16 v0, v84, 9
	s_mov_b32 s16, 0x5476071b
	s_mov_b32 s19, 0x3fd5d0dc
	;; [unrolled: 1-line block ×3, first 2 shown]
                                        ; implicit-def: $vgpr88_vgpr89
	s_delay_alu instid0(VALU_DEP_1) | instskip(NEXT) | instid1(VALU_DEP_1)
	v_sub_nc_u16 v0, v205, v0
	v_and_b32_e32 v85, 0xff, v0
	s_delay_alu instid0(VALU_DEP_1) | instskip(NEXT) | instid1(VALU_DEP_1)
	v_mul_u32_u24_e32 v0, 6, v85
	v_lshlrev_b32_e32 v0, 4, v0
	s_clause 0x5
	global_load_b128 v[8:11], v0, s[2:3]
	global_load_b128 v[4:7], v0, s[2:3] offset:16
	global_load_b128 v[12:15], v0, s[2:3] offset:80
	;; [unrolled: 1-line block ×5, first 2 shown]
	ds_load_b128 v[0:3], v206 offset:1872
	ds_load_b128 v[28:31], v206 offset:3744
	;; [unrolled: 1-line block ×6, first 2 shown]
	s_wait_loadcnt_dscnt 0x505
	v_mul_f64_e32 v[48:49], v[2:3], v[10:11]
	v_mul_f64_e32 v[50:51], v[0:1], v[10:11]
	s_wait_loadcnt_dscnt 0x404
	v_mul_f64_e32 v[52:53], v[30:31], v[6:7]
	v_mul_f64_e32 v[54:55], v[28:29], v[6:7]
	;; [unrolled: 3-line block ×6, first 2 shown]
	v_fma_f64 v[0:1], v[0:1], v[8:9], -v[48:49]
	v_fma_f64 v[2:3], v[2:3], v[8:9], v[50:51]
	v_fma_f64 v[28:29], v[28:29], v[4:5], -v[52:53]
	v_fma_f64 v[30:31], v[30:31], v[4:5], v[54:55]
	;; [unrolled: 2-line block ×6, first 2 shown]
	v_add_f64_e32 v[48:49], v[0:1], v[32:33]
	v_add_f64_e32 v[50:51], v[2:3], v[34:35]
	;; [unrolled: 1-line block ×4, first 2 shown]
	v_add_f64_e64 v[28:29], v[28:29], -v[36:37]
	v_add_f64_e64 v[30:31], v[30:31], -v[38:39]
	v_add_f64_e32 v[56:57], v[40:41], v[44:45]
	v_add_f64_e32 v[58:59], v[42:43], v[46:47]
	v_add_f64_e64 v[36:37], v[44:45], -v[40:41]
	v_add_f64_e64 v[38:39], v[46:47], -v[42:43]
	;; [unrolled: 1-line block ×4, first 2 shown]
	v_add_f64_e32 v[0:1], v[52:53], v[48:49]
	v_add_f64_e32 v[2:3], v[54:55], v[50:51]
	v_add_f64_e64 v[40:41], v[48:49], -v[56:57]
	v_add_f64_e64 v[42:43], v[50:51], -v[58:59]
	;; [unrolled: 1-line block ×10, first 2 shown]
	v_add_f64_e32 v[28:29], v[36:37], v[28:29]
	v_add_f64_e32 v[30:31], v[38:39], v[30:31]
	v_add_f64_e64 v[36:37], v[32:33], -v[36:37]
	v_add_f64_e64 v[38:39], v[34:35], -v[38:39]
	v_add_f64_e32 v[56:57], v[56:57], v[0:1]
	v_add_f64_e32 v[58:59], v[58:59], v[2:3]
	ds_load_b128 v[0:3], v206
	global_wb scope:SCOPE_SE
	s_wait_dscnt 0x0
	s_wait_alu 0xfffe
	v_mul_f64_e32 v[40:41], s[0:1], v[40:41]
	v_mul_f64_e32 v[42:43], s[0:1], v[42:43]
	s_mov_b32 s0, 0x429ad128
	v_mul_f64_e32 v[52:53], s[10:11], v[44:45]
	v_mul_f64_e32 v[54:55], s[10:11], v[46:47]
	;; [unrolled: 1-line block ×4, first 2 shown]
	s_mov_b32 s1, 0x3febfeb5
	s_mov_b32 s14, 0xaaaaaaaa
	s_wait_alu 0xfffe
	v_mul_f64_e32 v[80:81], s[0:1], v[76:77]
	v_mul_f64_e32 v[82:83], s[0:1], v[78:79]
	s_mov_b32 s15, 0xbff2aaaa
	s_barrier_signal -1
	s_barrier_wait -1
	global_inv scope:SCOPE_SE
	v_add_f64_e32 v[72:73], v[0:1], v[56:57]
	v_add_f64_e32 v[74:75], v[2:3], v[58:59]
	v_add_f64_e32 v[0:1], v[28:29], v[32:33]
	v_add_f64_e32 v[2:3], v[30:31], v[34:35]
	v_fma_f64 v[28:29], v[44:45], s[10:11], v[40:41]
	v_fma_f64 v[30:31], v[46:47], s[10:11], v[42:43]
	v_fma_f64 v[32:33], v[48:49], s[16:17], -v[52:53]
	v_fma_f64 v[34:35], v[50:51], s[16:17], -v[54:55]
	s_mov_b32 s17, 0xbfe77f67
	v_fma_f64 v[44:45], v[36:37], s[18:19], v[68:69]
	v_fma_f64 v[46:47], v[38:39], s[18:19], v[70:71]
	s_mov_b32 s19, 0xbfd5d0dc
	v_fma_f64 v[52:53], v[76:77], s[0:1], -v[68:69]
	v_fma_f64 v[54:55], v[78:79], s[0:1], -v[70:71]
	s_wait_alu 0xfffe
	v_fma_f64 v[36:37], v[36:37], s[18:19], -v[80:81]
	v_fma_f64 v[38:39], v[38:39], s[18:19], -v[82:83]
	;; [unrolled: 1-line block ×4, first 2 shown]
	s_mov_b32 s0, 0x37c3f68c
	s_mov_b32 s1, 0x3fdc38aa
                                        ; implicit-def: $vgpr80_vgpr81
	v_fma_f64 v[56:57], v[56:57], s[14:15], v[72:73]
	v_fma_f64 v[58:59], v[58:59], s[14:15], v[74:75]
	s_wait_alu 0xfffe
	v_fma_f64 v[44:45], v[0:1], s[0:1], v[44:45]
	v_fma_f64 v[46:47], v[2:3], s[0:1], v[46:47]
	;; [unrolled: 1-line block ×6, first 2 shown]
	v_cmp_gt_u16_e64 s0, 63, v205
	v_add_f64_e32 v[28:29], v[28:29], v[56:57]
	v_add_f64_e32 v[30:31], v[30:31], v[58:59]
	;; [unrolled: 1-line block ×7, first 2 shown]
	v_add_f64_e64 v[34:35], v[30:31], -v[44:45]
	v_add_f64_e32 v[40:41], v[2:3], v[36:37]
	v_add_f64_e64 v[42:43], v[38:39], -v[0:1]
	v_add_f64_e64 v[48:49], v[54:55], -v[52:53]
	v_add_f64_e32 v[50:51], v[68:69], v[56:57]
	v_add_f64_e32 v[52:53], v[52:53], v[54:55]
	v_add_f64_e64 v[54:55], v[56:57], -v[68:69]
	v_add_f64_e64 v[68:69], v[36:37], -v[2:3]
	v_add_f64_e32 v[70:71], v[0:1], v[38:39]
	v_add_f64_e64 v[76:77], v[28:29], -v[46:47]
	v_add_f64_e32 v[78:79], v[44:45], v[30:31]
	v_and_b32_e32 v0, 0xffff, v84
                                        ; implicit-def: $vgpr44_vgpr45
	s_delay_alu instid0(VALU_DEP_1) | instskip(NEXT) | instid1(VALU_DEP_1)
	v_mul_u32_u24_e32 v0, 63, v0
	v_add_lshl_u32 v208, v0, v85, 4
                                        ; implicit-def: $vgpr84_vgpr85
	ds_store_b128 v208, v[72:75]
	ds_store_b128 v208, v[32:35] offset:144
	ds_store_b128 v208, v[40:43] offset:288
	;; [unrolled: 1-line block ×6, first 2 shown]
	global_wb scope:SCOPE_SE
	s_wait_dscnt 0x0
	s_barrier_signal -1
	s_barrier_wait -1
	global_inv scope:SCOPE_SE
	s_and_saveexec_b32 s1, s0
	s_cbranch_execz .LBB0_9
; %bb.8:
	ds_load_b128 v[72:75], v206
	ds_load_b128 v[32:35], v206 offset:1008
	ds_load_b128 v[40:43], v206 offset:2016
	;; [unrolled: 1-line block ×12, first 2 shown]
.LBB0_9:
	s_wait_alu 0xfffe
	s_or_b32 exec_lo, exec_lo, s1
	v_subrev_nc_u32_e32 v0, 63, v205
	s_mov_b32 s22, 0x24c2f84
	s_mov_b32 s23, 0xbfe5384d
	;; [unrolled: 1-line block ×4, first 2 shown]
	v_cndmask_b32_e64 v0, v0, v205, s0
	s_mov_b32 s20, 0x2ef20147
	s_mov_b32 s21, 0xbfedeba7
	;; [unrolled: 1-line block ×4, first 2 shown]
	v_mul_i32_i24_e32 v1, 0xc0, v0
	v_mul_hi_i32_i24_e32 v0, 0xc0, v0
	s_mov_b32 s30, 0x4bc48dbf
	s_mov_b32 s10, 0xb2365da1
	;; [unrolled: 1-line block ×3, first 2 shown]
	v_add_co_u32 v92, s1, s2, v1
	s_wait_alu 0xf1ff
	v_add_co_ci_u32_e64 v93, s1, s3, v0, s1
	s_mov_b32 s24, 0x4267c47c
	s_mov_b32 s29, 0xbfea55e2
	s_mov_b32 s35, 0xbfefc445
	s_clause 0x1
	global_load_b128 v[0:3], v[92:93], off offset:864
	global_load_b128 v[28:31], v[92:93], off offset:880
	s_mov_b32 s31, 0xbfcea1e5
	s_mov_b32 s11, 0xbfd6b1d8
	;; [unrolled: 1-line block ×11, first 2 shown]
	s_wait_alu 0xfffe
	s_mov_b32 s38, s22
	s_mov_b32 s37, 0x3fefc445
	;; [unrolled: 1-line block ×5, first 2 shown]
	s_wait_loadcnt_dscnt 0x10b
	v_mul_f64_e32 v[36:37], v[32:33], v[2:3]
	s_delay_alu instid0(VALU_DEP_1) | instskip(SKIP_1) | instid1(VALU_DEP_2)
	v_fma_f64 v[94:95], v[34:35], v[0:1], v[36:37]
	v_mul_f64_e32 v[34:35], v[34:35], v[2:3]
	v_add_f64_e32 v[167:168], v[74:75], v[94:95]
	s_delay_alu instid0(VALU_DEP_2)
	v_fma_f64 v[96:97], v[32:33], v[0:1], -v[34:35]
	s_clause 0x1
	global_load_b128 v[32:35], v[92:93], off offset:1040
	global_load_b128 v[36:39], v[92:93], off offset:1024
	v_add_f64_e32 v[165:166], v[72:73], v[96:97]
	s_wait_loadcnt_dscnt 0x100
	v_mul_f64_e32 v[56:57], v[44:45], v[34:35]
	s_delay_alu instid0(VALU_DEP_1) | instskip(SKIP_1) | instid1(VALU_DEP_2)
	v_fma_f64 v[106:107], v[46:47], v[32:33], v[56:57]
	v_mul_f64_e32 v[46:47], v[46:47], v[34:35]
	v_add_f64_e32 v[161:162], v[94:95], v[106:107]
	s_delay_alu instid0(VALU_DEP_2) | instskip(SKIP_1) | instid1(VALU_DEP_1)
	v_fma_f64 v[104:105], v[44:45], v[32:33], -v[46:47]
	v_mul_f64_e32 v[44:45], v[42:43], v[30:31]
	v_fma_f64 v[120:121], v[40:41], v[28:29], -v[44:45]
	v_mul_f64_e32 v[40:41], v[40:41], v[30:31]
	s_delay_alu instid0(VALU_DEP_1)
	v_fma_f64 v[122:123], v[42:43], v[28:29], v[40:41]
	s_clause 0x1
	global_load_b128 v[40:43], v[92:93], off offset:896
	global_load_b128 v[44:47], v[92:93], off offset:912
	s_wait_loadcnt 0x1
	v_mul_f64_e32 v[56:57], v[50:51], v[42:43]
	s_delay_alu instid0(VALU_DEP_1) | instskip(SKIP_1) | instid1(VALU_DEP_1)
	v_fma_f64 v[125:126], v[48:49], v[40:41], -v[56:57]
	v_mul_f64_e32 v[48:49], v[48:49], v[42:43]
	v_fma_f64 v[127:128], v[50:51], v[40:41], v[48:49]
	s_wait_loadcnt 0x0
	v_mul_f64_e32 v[48:49], v[54:55], v[46:47]
	s_delay_alu instid0(VALU_DEP_1) | instskip(SKIP_1) | instid1(VALU_DEP_1)
	v_fma_f64 v[129:130], v[52:53], v[44:45], -v[48:49]
	v_mul_f64_e32 v[48:49], v[52:53], v[46:47]
	v_fma_f64 v[131:132], v[54:55], v[44:45], v[48:49]
	s_clause 0x1
	global_load_b128 v[48:51], v[92:93], off offset:928
	global_load_b128 v[56:59], v[92:93], off offset:944
	s_wait_loadcnt 0x1
	v_mul_f64_e32 v[52:53], v[70:71], v[50:51]
	s_delay_alu instid0(VALU_DEP_1) | instskip(SKIP_1) | instid1(VALU_DEP_1)
	v_fma_f64 v[133:134], v[68:69], v[48:49], -v[52:53]
	v_mul_f64_e32 v[52:53], v[68:69], v[50:51]
	v_fma_f64 v[135:136], v[70:71], v[48:49], v[52:53]
	s_wait_loadcnt 0x0
	v_mul_f64_e32 v[52:53], v[78:79], v[58:59]
	s_delay_alu instid0(VALU_DEP_1) | instskip(SKIP_1) | instid1(VALU_DEP_1)
	v_fma_f64 v[137:138], v[76:77], v[56:57], -v[52:53]
	v_mul_f64_e32 v[52:53], v[76:77], v[58:59]
	v_fma_f64 v[139:140], v[78:79], v[56:57], v[52:53]
	s_clause 0x1
	global_load_b128 v[68:71], v[92:93], off offset:960
	global_load_b128 v[52:55], v[92:93], off offset:976
	s_wait_loadcnt 0x1
	v_mul_f64_e32 v[76:77], v[62:63], v[70:71]
	s_delay_alu instid0(VALU_DEP_1) | instskip(SKIP_1) | instid1(VALU_DEP_2)
	v_fma_f64 v[141:142], v[60:61], v[68:69], -v[76:77]
	v_mul_f64_e32 v[60:61], v[60:61], v[70:71]
	v_add_f64_e32 v[201:202], v[137:138], v[141:142]
	s_delay_alu instid0(VALU_DEP_2) | instskip(SKIP_3) | instid1(VALU_DEP_3)
	v_fma_f64 v[143:144], v[62:63], v[68:69], v[60:61]
	s_wait_loadcnt 0x0
	v_mul_f64_e32 v[60:61], v[66:67], v[54:55]
	v_add_f64_e64 v[231:232], v[137:138], -v[141:142]
	v_add_f64_e64 v[227:228], v[139:140], -v[143:144]
	s_delay_alu instid0(VALU_DEP_3) | instskip(SKIP_2) | instid1(VALU_DEP_4)
	v_fma_f64 v[145:146], v[64:65], v[52:53], -v[60:61]
	v_mul_f64_e32 v[60:61], v[64:65], v[54:55]
	v_add_f64_e32 v[203:204], v[139:140], v[143:144]
	v_mul_f64_e32 v[229:230], s[30:31], v[227:228]
	s_delay_alu instid0(VALU_DEP_4) | instskip(NEXT) | instid1(VALU_DEP_4)
	v_add_f64_e32 v[193:194], v[133:134], v[145:146]
	v_fma_f64 v[147:148], v[66:67], v[52:53], v[60:61]
	s_clause 0x1
	global_load_b128 v[64:67], v[92:93], off offset:992
	global_load_b128 v[60:63], v[92:93], off offset:1008
	v_add_f64_e64 v[199:200], v[133:134], -v[145:146]
	v_add_f64_e64 v[197:198], v[135:136], -v[147:148]
	v_add_f64_e32 v[195:196], v[135:136], v[147:148]
	s_delay_alu instid0(VALU_DEP_3) | instskip(NEXT) | instid1(VALU_DEP_3)
	v_mul_f64_e32 v[225:226], s[22:23], v[199:200]
	v_mul_f64_e32 v[223:224], s[22:23], v[197:198]
	s_wait_loadcnt 0x1
	v_mul_f64_e32 v[76:77], v[82:83], v[66:67]
	s_delay_alu instid0(VALU_DEP_1) | instskip(SKIP_1) | instid1(VALU_DEP_2)
	v_fma_f64 v[149:150], v[80:81], v[64:65], -v[76:77]
	v_mul_f64_e32 v[76:77], v[80:81], v[66:67]
	v_add_f64_e32 v[185:186], v[129:130], v[149:150]
	s_delay_alu instid0(VALU_DEP_2) | instskip(SKIP_3) | instid1(VALU_DEP_3)
	v_fma_f64 v[151:152], v[82:83], v[64:65], v[76:77]
	s_wait_loadcnt 0x0
	v_mul_f64_e32 v[76:77], v[86:87], v[62:63]
	v_add_f64_e64 v[191:192], v[129:130], -v[149:150]
	v_add_f64_e64 v[189:190], v[131:132], -v[151:152]
	s_delay_alu instid0(VALU_DEP_3) | instskip(SKIP_4) | instid1(VALU_DEP_4)
	v_fma_f64 v[153:154], v[84:85], v[60:61], -v[76:77]
	v_mul_f64_e32 v[76:77], v[84:85], v[62:63]
	v_add_f64_e32 v[187:188], v[131:132], v[151:152]
	v_mul_f64_e32 v[221:222], s[20:21], v[191:192]
	v_mul_f64_e32 v[219:220], s[20:21], v[189:190]
	v_fma_f64 v[155:156], v[86:87], v[60:61], v[76:77]
	v_mul_f64_e32 v[76:77], v[90:91], v[38:39]
	s_delay_alu instid0(VALU_DEP_1) | instskip(SKIP_2) | instid1(VALU_DEP_2)
	v_fma_f64 v[157:158], v[88:89], v[36:37], -v[76:77]
	v_mul_f64_e32 v[76:77], v[88:89], v[38:39]
	v_add_f64_e32 v[88:89], v[96:97], v[104:105]
	v_fma_f64 v[159:160], v[90:91], v[36:37], v[76:77]
	v_add_f64_e64 v[76:77], v[94:95], -v[106:107]
	s_delay_alu instid0(VALU_DEP_1)
	v_mul_f64_e32 v[86:87], s[22:23], v[76:77]
	v_mul_f64_e32 v[78:79], s[24:25], v[76:77]
	;; [unrolled: 1-line block ×6, first 2 shown]
	v_fma_f64 v[102:103], v[88:89], s[18:19], -v[86:87]
	v_fma_f64 v[112:113], v[88:89], s[18:19], v[86:87]
	v_add_f64_e64 v[86:87], v[96:97], -v[104:105]
	v_fma_f64 v[90:91], v[88:89], s[16:17], -v[78:79]
	v_fma_f64 v[78:79], v[88:89], s[16:17], v[78:79]
	v_fma_f64 v[92:93], v[88:89], s[14:15], -v[80:81]
	v_fma_f64 v[80:81], v[88:89], s[14:15], v[80:81]
	;; [unrolled: 2-line block ×5, first 2 shown]
	v_add_f64_e32 v[102:103], v[72:73], v[102:103]
	v_mul_f64_e32 v[116:117], s[20:21], v[86:87]
	v_mul_f64_e32 v[108:109], s[28:29], v[86:87]
	;; [unrolled: 1-line block ×6, first 2 shown]
	v_add_f64_e32 v[213:214], v[72:73], v[80:81]
	v_add_f64_e32 v[90:91], v[72:73], v[90:91]
	;; [unrolled: 1-line block ×6, first 2 shown]
	s_mov_b32 s25, 0x3fddbe06
	v_fma_f64 v[175:176], v[161:162], s[10:11], v[116:117]
	v_fma_f64 v[169:170], v[161:162], s[14:15], v[108:109]
	v_fma_f64 v[108:109], v[161:162], s[14:15], -v[108:109]
	v_fma_f64 v[171:172], v[161:162], s[2:3], v[110:111]
	v_fma_f64 v[173:174], v[161:162], s[2:3], -v[110:111]
	v_fma_f64 v[163:164], v[161:162], s[16:17], v[88:89]
	v_fma_f64 v[88:89], v[161:162], s[16:17], -v[88:89]
	v_fma_f64 v[116:117], v[161:162], s[10:11], -v[116:117]
	v_fma_f64 v[177:178], v[161:162], s[18:19], v[118:119]
	v_fma_f64 v[179:180], v[161:162], s[18:19], -v[118:119]
	v_fma_f64 v[181:182], v[161:162], s[26:27], v[86:87]
	v_fma_f64 v[183:184], v[161:162], s[26:27], -v[86:87]
	v_add_f64_e32 v[161:162], v[72:73], v[76:77]
	v_add_f64_e32 v[110:111], v[72:73], v[98:99]
	;; [unrolled: 1-line block ×6, first 2 shown]
	v_add_f64_e64 v[175:176], v[120:121], -v[157:158]
	v_add_f64_e32 v[215:216], v[74:75], v[108:109]
	v_add_f64_e32 v[108:109], v[74:75], v[171:172]
	;; [unrolled: 1-line block ×3, first 2 shown]
	v_add_f64_e64 v[173:174], v[122:123], -v[159:160]
	v_add_f64_e32 v[171:172], v[122:123], v[159:160]
	v_add_f64_e32 v[94:95], v[74:75], v[163:164]
	;; [unrolled: 1-line block ×6, first 2 shown]
	v_add_f64_e64 v[181:182], v[127:128], -v[155:156]
	v_add_f64_e32 v[84:85], v[74:75], v[116:117]
	v_add_f64_e32 v[100:101], v[74:75], v[177:178]
	;; [unrolled: 1-line block ×5, first 2 shown]
	v_add_f64_e64 v[183:184], v[125:126], -v[153:154]
	v_add_f64_e32 v[179:180], v[127:128], v[155:156]
	v_add_f64_e32 v[120:121], v[165:166], v[120:121]
	;; [unrolled: 1-line block ×3, first 2 shown]
	v_mul_f64_e32 v[76:77], s[28:29], v[175:176]
	v_mul_f64_e32 v[72:73], s[28:29], v[173:174]
	;; [unrolled: 1-line block ×3, first 2 shown]
	v_add_f64_e32 v[120:121], v[120:121], v[125:126]
	v_add_f64_e32 v[122:123], v[122:123], v[127:128]
	v_fma_f64 v[88:89], v[171:172], s[14:15], v[76:77]
	v_fma_f64 v[76:77], v[171:172], s[14:15], -v[76:77]
	v_fma_f64 v[74:75], v[169:170], s[14:15], -v[72:73]
	v_fma_f64 v[72:73], v[169:170], s[14:15], v[72:73]
	v_add_f64_e32 v[120:121], v[120:121], v[129:130]
	v_add_f64_e32 v[122:123], v[122:123], v[131:132]
	;; [unrolled: 1-line block ×3, first 2 shown]
	v_mul_f64_e32 v[94:95], s[34:35], v[181:182]
	v_add_f64_e32 v[76:77], v[76:77], v[209:210]
	v_mul_f64_e32 v[209:210], s[20:21], v[175:176]
	v_add_f64_e32 v[74:75], v[74:75], v[90:91]
	v_add_f64_e32 v[72:73], v[72:73], v[78:79]
	;; [unrolled: 1-line block ×4, first 2 shown]
	v_fma_f64 v[90:91], v[177:178], s[2:3], -v[94:95]
	v_fma_f64 v[78:79], v[177:178], s[2:3], v[94:95]
	s_delay_alu instid0(VALU_DEP_4) | instskip(NEXT) | instid1(VALU_DEP_4)
	v_add_f64_e32 v[120:121], v[120:121], v[137:138]
	v_add_f64_e32 v[122:123], v[122:123], v[139:140]
	s_delay_alu instid0(VALU_DEP_4)
	v_add_f64_e32 v[74:75], v[90:91], v[74:75]
	v_fma_f64 v[90:91], v[179:180], s[2:3], v[217:218]
	v_add_f64_e32 v[72:73], v[78:79], v[72:73]
	v_fma_f64 v[78:79], v[179:180], s[2:3], -v[217:218]
	v_mul_f64_e32 v[217:218], s[30:31], v[183:184]
	v_add_f64_e32 v[120:121], v[120:121], v[141:142]
	v_add_f64_e32 v[122:123], v[122:123], v[143:144]
	;; [unrolled: 1-line block ×3, first 2 shown]
	v_fma_f64 v[90:91], v[185:186], s[10:11], -v[219:220]
	v_add_f64_e32 v[76:77], v[78:79], v[76:77]
	v_fma_f64 v[78:79], v[185:186], s[10:11], v[219:220]
	v_mul_f64_e32 v[219:220], s[38:39], v[189:190]
	v_add_f64_e32 v[120:121], v[120:121], v[145:146]
	v_add_f64_e32 v[122:123], v[122:123], v[147:148]
	;; [unrolled: 1-line block ×3, first 2 shown]
	v_fma_f64 v[90:91], v[187:188], s[10:11], v[221:222]
	v_add_f64_e32 v[72:73], v[78:79], v[72:73]
	v_fma_f64 v[78:79], v[187:188], s[10:11], -v[221:222]
	v_mul_f64_e32 v[221:222], s[38:39], v[191:192]
	v_add_f64_e32 v[120:121], v[120:121], v[149:150]
	v_add_f64_e32 v[122:123], v[122:123], v[151:152]
	;; [unrolled: 1-line block ×3, first 2 shown]
	v_fma_f64 v[90:91], v[193:194], s[18:19], -v[223:224]
	v_add_f64_e32 v[76:77], v[78:79], v[76:77]
	v_fma_f64 v[78:79], v[193:194], s[18:19], v[223:224]
	v_mul_f64_e32 v[223:224], s[36:37], v[197:198]
	v_add_f64_e32 v[120:121], v[120:121], v[153:154]
	v_add_f64_e32 v[122:123], v[122:123], v[155:156]
	v_add_f64_e32 v[74:75], v[90:91], v[74:75]
	v_fma_f64 v[90:91], v[195:196], s[18:19], v[225:226]
	v_add_f64_e32 v[72:73], v[78:79], v[72:73]
	v_fma_f64 v[78:79], v[195:196], s[18:19], -v[225:226]
	v_mul_f64_e32 v[225:226], s[36:37], v[199:200]
	v_add_f64_e32 v[120:121], v[120:121], v[157:158]
	v_add_f64_e32 v[122:123], v[122:123], v[159:160]
	v_add_f64_e32 v[90:91], v[90:91], v[88:89]
	v_fma_f64 v[88:89], v[201:202], s[26:27], -v[229:230]
	v_add_f64_e32 v[76:77], v[78:79], v[76:77]
	v_fma_f64 v[78:79], v[201:202], s[26:27], v[229:230]
	s_wait_alu 0xfffe
	v_mul_f64_e32 v[229:230], s[24:25], v[227:228]
	v_add_f64_e32 v[104:105], v[120:121], v[104:105]
	v_add_f64_e32 v[106:107], v[122:123], v[106:107]
	;; [unrolled: 1-line block ×3, first 2 shown]
	v_mul_f64_e32 v[74:75], s[30:31], v[231:232]
	v_add_f64_e32 v[72:73], v[78:79], v[72:73]
	s_delay_alu instid0(VALU_DEP_2) | instskip(SKIP_1) | instid1(VALU_DEP_2)
	v_fma_f64 v[233:234], v[203:204], s[26:27], v[74:75]
	v_fma_f64 v[74:75], v[203:204], s[26:27], -v[74:75]
	v_add_f64_e32 v[90:91], v[233:234], v[90:91]
	s_delay_alu instid0(VALU_DEP_2) | instskip(SKIP_1) | instid1(VALU_DEP_1)
	v_add_f64_e32 v[74:75], v[74:75], v[76:77]
	v_mul_f64_e32 v[76:77], s[20:21], v[173:174]
	v_fma_f64 v[78:79], v[169:170], s[10:11], -v[76:77]
	v_fma_f64 v[76:77], v[169:170], s[10:11], v[76:77]
	s_delay_alu instid0(VALU_DEP_2) | instskip(SKIP_1) | instid1(VALU_DEP_3)
	v_add_f64_e32 v[78:79], v[78:79], v[92:93]
	v_fma_f64 v[92:93], v[171:172], s[10:11], v[209:210]
	v_add_f64_e32 v[76:77], v[76:77], v[213:214]
	v_fma_f64 v[209:210], v[171:172], s[10:11], -v[209:210]
	s_delay_alu instid0(VALU_DEP_3) | instskip(SKIP_1) | instid1(VALU_DEP_3)
	v_add_f64_e32 v[92:93], v[92:93], v[211:212]
	v_mul_f64_e32 v[211:212], s[30:31], v[181:182]
	v_add_f64_e32 v[209:210], v[209:210], v[215:216]
	s_delay_alu instid0(VALU_DEP_2) | instskip(SKIP_1) | instid1(VALU_DEP_2)
	v_fma_f64 v[94:95], v[177:178], s[26:27], -v[211:212]
	v_fma_f64 v[211:212], v[177:178], s[26:27], v[211:212]
	v_add_f64_e32 v[78:79], v[94:95], v[78:79]
	v_fma_f64 v[94:95], v[179:180], s[26:27], v[217:218]
	s_delay_alu instid0(VALU_DEP_3) | instskip(SKIP_1) | instid1(VALU_DEP_3)
	v_add_f64_e32 v[76:77], v[211:212], v[76:77]
	v_fma_f64 v[211:212], v[179:180], s[26:27], -v[217:218]
	v_add_f64_e32 v[92:93], v[94:95], v[92:93]
	v_fma_f64 v[94:95], v[185:186], s[18:19], -v[219:220]
	s_delay_alu instid0(VALU_DEP_3) | instskip(SKIP_1) | instid1(VALU_DEP_3)
	v_add_f64_e32 v[209:210], v[211:212], v[209:210]
	v_fma_f64 v[211:212], v[185:186], s[18:19], v[219:220]
	v_add_f64_e32 v[78:79], v[94:95], v[78:79]
	v_fma_f64 v[94:95], v[187:188], s[18:19], v[221:222]
	s_delay_alu instid0(VALU_DEP_3) | instskip(SKIP_1) | instid1(VALU_DEP_3)
	v_add_f64_e32 v[76:77], v[211:212], v[76:77]
	v_fma_f64 v[211:212], v[187:188], s[18:19], -v[221:222]
	v_add_f64_e32 v[92:93], v[94:95], v[92:93]
	v_fma_f64 v[94:95], v[193:194], s[2:3], -v[223:224]
	s_delay_alu instid0(VALU_DEP_3) | instskip(SKIP_1) | instid1(VALU_DEP_3)
	v_add_f64_e32 v[209:210], v[211:212], v[209:210]
	v_fma_f64 v[211:212], v[193:194], s[2:3], v[223:224]
	v_add_f64_e32 v[78:79], v[94:95], v[78:79]
	v_fma_f64 v[94:95], v[195:196], s[2:3], v[225:226]
	s_delay_alu instid0(VALU_DEP_3) | instskip(SKIP_1) | instid1(VALU_DEP_3)
	v_add_f64_e32 v[76:77], v[211:212], v[76:77]
	v_fma_f64 v[211:212], v[195:196], s[2:3], -v[225:226]
	v_add_f64_e32 v[94:95], v[94:95], v[92:93]
	v_fma_f64 v[92:93], v[201:202], s[16:17], -v[229:230]
	s_delay_alu instid0(VALU_DEP_3) | instskip(SKIP_2) | instid1(VALU_DEP_4)
	v_add_f64_e32 v[209:210], v[211:212], v[209:210]
	v_fma_f64 v[211:212], v[201:202], s[16:17], v[229:230]
	v_mul_f64_e32 v[229:230], s[22:23], v[227:228]
	v_add_f64_e32 v[92:93], v[92:93], v[78:79]
	v_mul_f64_e32 v[78:79], s[24:25], v[231:232]
	s_delay_alu instid0(VALU_DEP_4) | instskip(NEXT) | instid1(VALU_DEP_2)
	v_add_f64_e32 v[76:77], v[211:212], v[76:77]
	v_fma_f64 v[233:234], v[203:204], s[16:17], v[78:79]
	v_fma_f64 v[78:79], v[203:204], s[16:17], -v[78:79]
	s_delay_alu instid0(VALU_DEP_2) | instskip(NEXT) | instid1(VALU_DEP_2)
	v_add_f64_e32 v[94:95], v[233:234], v[94:95]
	v_add_f64_e32 v[78:79], v[78:79], v[209:210]
	v_mul_f64_e32 v[209:210], s[30:31], v[173:174]
	v_mul_f64_e32 v[233:234], s[22:23], v[231:232]
	s_delay_alu instid0(VALU_DEP_2) | instskip(SKIP_1) | instid1(VALU_DEP_2)
	v_fma_f64 v[211:212], v[169:170], s[26:27], -v[209:210]
	v_fma_f64 v[209:210], v[169:170], s[26:27], v[209:210]
	v_add_f64_e32 v[110:111], v[211:212], v[110:111]
	v_mul_f64_e32 v[211:212], s[30:31], v[175:176]
	s_delay_alu instid0(VALU_DEP_3) | instskip(SKIP_1) | instid1(VALU_DEP_2)
	v_add_f64_e32 v[82:83], v[209:210], v[82:83]
	s_mov_b32 s31, 0x3fcea1e5
	v_fma_f64 v[213:214], v[171:172], s[26:27], v[211:212]
	v_fma_f64 v[209:210], v[171:172], s[26:27], -v[211:212]
	v_fma_f64 v[211:212], v[203:204], s[18:19], -v[233:234]
	s_delay_alu instid0(VALU_DEP_3) | instskip(SKIP_1) | instid1(VALU_DEP_4)
	v_add_f64_e32 v[108:109], v[213:214], v[108:109]
	v_mul_f64_e32 v[213:214], s[40:41], v[181:182]
	v_add_f64_e32 v[80:81], v[209:210], v[80:81]
	s_delay_alu instid0(VALU_DEP_2) | instskip(SKIP_1) | instid1(VALU_DEP_2)
	v_fma_f64 v[215:216], v[177:178], s[10:11], -v[213:214]
	v_fma_f64 v[209:210], v[177:178], s[10:11], v[213:214]
	v_add_f64_e32 v[110:111], v[215:216], v[110:111]
	v_mul_f64_e32 v[215:216], s[40:41], v[183:184]
	s_delay_alu instid0(VALU_DEP_3) | instskip(NEXT) | instid1(VALU_DEP_2)
	v_add_f64_e32 v[82:83], v[209:210], v[82:83]
	v_fma_f64 v[217:218], v[179:180], s[10:11], v[215:216]
	v_fma_f64 v[209:210], v[179:180], s[10:11], -v[215:216]
	s_delay_alu instid0(VALU_DEP_2) | instskip(SKIP_1) | instid1(VALU_DEP_3)
	v_add_f64_e32 v[108:109], v[217:218], v[108:109]
	v_mul_f64_e32 v[217:218], s[24:25], v[189:190]
	v_add_f64_e32 v[80:81], v[209:210], v[80:81]
	s_delay_alu instid0(VALU_DEP_2) | instskip(SKIP_1) | instid1(VALU_DEP_2)
	v_fma_f64 v[219:220], v[185:186], s[16:17], -v[217:218]
	v_fma_f64 v[209:210], v[185:186], s[16:17], v[217:218]
	v_add_f64_e32 v[110:111], v[219:220], v[110:111]
	v_mul_f64_e32 v[219:220], s[24:25], v[191:192]
	s_delay_alu instid0(VALU_DEP_3) | instskip(NEXT) | instid1(VALU_DEP_2)
	v_add_f64_e32 v[82:83], v[209:210], v[82:83]
	v_fma_f64 v[221:222], v[187:188], s[16:17], v[219:220]
	v_fma_f64 v[209:210], v[187:188], s[16:17], -v[219:220]
	s_delay_alu instid0(VALU_DEP_2) | instskip(SKIP_1) | instid1(VALU_DEP_3)
	v_add_f64_e32 v[108:109], v[221:222], v[108:109]
	v_mul_f64_e32 v[221:222], s[28:29], v[197:198]
	v_add_f64_e32 v[80:81], v[209:210], v[80:81]
	s_delay_alu instid0(VALU_DEP_2) | instskip(SKIP_1) | instid1(VALU_DEP_2)
	v_fma_f64 v[223:224], v[193:194], s[14:15], -v[221:222]
	v_fma_f64 v[209:210], v[193:194], s[14:15], v[221:222]
	v_add_f64_e32 v[110:111], v[223:224], v[110:111]
	v_mul_f64_e32 v[223:224], s[28:29], v[199:200]
	s_delay_alu instid0(VALU_DEP_3) | instskip(NEXT) | instid1(VALU_DEP_2)
	v_add_f64_e32 v[82:83], v[209:210], v[82:83]
	v_fma_f64 v[209:210], v[195:196], s[14:15], -v[223:224]
	v_fma_f64 v[225:226], v[195:196], s[14:15], v[223:224]
	s_delay_alu instid0(VALU_DEP_2) | instskip(SKIP_1) | instid1(VALU_DEP_3)
	v_add_f64_e32 v[209:210], v[209:210], v[80:81]
	v_fma_f64 v[80:81], v[201:202], s[18:19], v[229:230]
	v_add_f64_e32 v[225:226], v[225:226], v[108:109]
	v_fma_f64 v[108:109], v[201:202], s[18:19], -v[229:230]
	s_delay_alu instid0(VALU_DEP_3) | instskip(SKIP_2) | instid1(VALU_DEP_4)
	v_add_f64_e32 v[80:81], v[80:81], v[82:83]
	v_add_f64_e32 v[82:83], v[211:212], v[209:210]
	v_mul_f64_e32 v[209:210], s[38:39], v[173:174]
	v_add_f64_e32 v[108:109], v[108:109], v[110:111]
	v_fma_f64 v[110:111], v[203:204], s[18:19], v[233:234]
	s_delay_alu instid0(VALU_DEP_3) | instskip(SKIP_1) | instid1(VALU_DEP_3)
	v_fma_f64 v[211:212], v[169:170], s[18:19], -v[209:210]
	v_fma_f64 v[209:210], v[169:170], s[18:19], v[209:210]
	v_add_f64_e32 v[110:111], v[110:111], v[225:226]
	s_delay_alu instid0(VALU_DEP_3) | instskip(SKIP_1) | instid1(VALU_DEP_4)
	v_add_f64_e32 v[98:99], v[211:212], v[98:99]
	v_mul_f64_e32 v[211:212], s[38:39], v[175:176]
	v_add_f64_e32 v[86:87], v[209:210], v[86:87]
	s_delay_alu instid0(VALU_DEP_2) | instskip(SKIP_1) | instid1(VALU_DEP_2)
	v_fma_f64 v[213:214], v[171:172], s[18:19], v[211:212]
	v_fma_f64 v[209:210], v[171:172], s[18:19], -v[211:212]
	v_add_f64_e32 v[96:97], v[213:214], v[96:97]
	v_mul_f64_e32 v[213:214], s[24:25], v[181:182]
	s_delay_alu instid0(VALU_DEP_3) | instskip(NEXT) | instid1(VALU_DEP_2)
	v_add_f64_e32 v[84:85], v[209:210], v[84:85]
	v_fma_f64 v[215:216], v[177:178], s[16:17], -v[213:214]
	v_fma_f64 v[209:210], v[177:178], s[16:17], v[213:214]
	s_delay_alu instid0(VALU_DEP_2) | instskip(SKIP_1) | instid1(VALU_DEP_3)
	v_add_f64_e32 v[98:99], v[215:216], v[98:99]
	v_mul_f64_e32 v[215:216], s[24:25], v[183:184]
	v_add_f64_e32 v[86:87], v[209:210], v[86:87]
	s_delay_alu instid0(VALU_DEP_2) | instskip(SKIP_1) | instid1(VALU_DEP_2)
	v_fma_f64 v[217:218], v[179:180], s[16:17], v[215:216]
	v_fma_f64 v[209:210], v[179:180], s[16:17], -v[215:216]
	v_add_f64_e32 v[96:97], v[217:218], v[96:97]
	v_mul_f64_e32 v[217:218], s[34:35], v[189:190]
	s_delay_alu instid0(VALU_DEP_3) | instskip(NEXT) | instid1(VALU_DEP_2)
	v_add_f64_e32 v[84:85], v[209:210], v[84:85]
	v_fma_f64 v[219:220], v[185:186], s[2:3], -v[217:218]
	v_fma_f64 v[209:210], v[185:186], s[2:3], v[217:218]
	s_delay_alu instid0(VALU_DEP_2) | instskip(SKIP_1) | instid1(VALU_DEP_3)
	v_add_f64_e32 v[98:99], v[219:220], v[98:99]
	v_mul_f64_e32 v[219:220], s[34:35], v[191:192]
	v_add_f64_e32 v[86:87], v[209:210], v[86:87]
	s_mov_b32 s35, 0x3fea55e2
	s_mov_b32 s34, s28
	s_wait_alu 0xfffe
	v_mul_f64_e32 v[229:230], s[34:35], v[227:228]
	v_mul_f64_e32 v[233:234], s[34:35], v[231:232]
	s_delay_alu instid0(VALU_DEP_4) | instskip(SKIP_1) | instid1(VALU_DEP_3)
	v_fma_f64 v[221:222], v[187:188], s[2:3], v[219:220]
	v_fma_f64 v[209:210], v[187:188], s[2:3], -v[219:220]
	v_fma_f64 v[211:212], v[203:204], s[14:15], -v[233:234]
	s_delay_alu instid0(VALU_DEP_3) | instskip(SKIP_1) | instid1(VALU_DEP_4)
	v_add_f64_e32 v[96:97], v[221:222], v[96:97]
	v_mul_f64_e32 v[221:222], s[30:31], v[197:198]
	v_add_f64_e32 v[84:85], v[209:210], v[84:85]
	s_delay_alu instid0(VALU_DEP_2) | instskip(SKIP_1) | instid1(VALU_DEP_2)
	v_fma_f64 v[223:224], v[193:194], s[26:27], -v[221:222]
	v_fma_f64 v[209:210], v[193:194], s[26:27], v[221:222]
	v_add_f64_e32 v[98:99], v[223:224], v[98:99]
	v_mul_f64_e32 v[223:224], s[30:31], v[199:200]
	s_delay_alu instid0(VALU_DEP_3) | instskip(NEXT) | instid1(VALU_DEP_2)
	v_add_f64_e32 v[86:87], v[209:210], v[86:87]
	v_fma_f64 v[209:210], v[195:196], s[26:27], -v[223:224]
	v_fma_f64 v[225:226], v[195:196], s[26:27], v[223:224]
	s_delay_alu instid0(VALU_DEP_2) | instskip(SKIP_1) | instid1(VALU_DEP_3)
	v_add_f64_e32 v[209:210], v[209:210], v[84:85]
	v_fma_f64 v[84:85], v[201:202], s[14:15], v[229:230]
	v_add_f64_e32 v[225:226], v[225:226], v[96:97]
	v_fma_f64 v[96:97], v[201:202], s[14:15], -v[229:230]
	v_mul_f64_e32 v[229:230], s[20:21], v[227:228]
	s_delay_alu instid0(VALU_DEP_4)
	v_add_f64_e32 v[84:85], v[84:85], v[86:87]
	v_add_f64_e32 v[86:87], v[211:212], v[209:210]
	v_mul_f64_e32 v[209:210], s[36:37], v[173:174]
	v_add_f64_e32 v[96:97], v[96:97], v[98:99]
	v_fma_f64 v[98:99], v[203:204], s[14:15], v[233:234]
	v_mul_f64_e32 v[233:234], s[20:21], v[231:232]
	v_mul_f64_e32 v[173:174], s[24:25], v[173:174]
	v_fma_f64 v[211:212], v[169:170], s[2:3], -v[209:210]
	v_fma_f64 v[209:210], v[169:170], s[2:3], v[209:210]
	v_add_f64_e32 v[98:99], v[98:99], v[225:226]
	s_delay_alu instid0(VALU_DEP_4) | instskip(NEXT) | instid1(VALU_DEP_4)
	v_fma_f64 v[120:121], v[169:170], s[16:17], v[173:174]
	v_add_f64_e32 v[102:103], v[211:212], v[102:103]
	v_mul_f64_e32 v[211:212], s[36:37], v[175:176]
	v_add_f64_e32 v[118:119], v[209:210], v[118:119]
	v_mul_f64_e32 v[175:176], s[24:25], v[175:176]
	v_add_f64_e32 v[120:121], v[120:121], v[161:162]
	s_delay_alu instid0(VALU_DEP_4) | instskip(SKIP_3) | instid1(VALU_DEP_4)
	v_fma_f64 v[213:214], v[171:172], s[2:3], v[211:212]
	v_fma_f64 v[209:210], v[171:172], s[2:3], -v[211:212]
	v_fma_f64 v[211:212], v[203:204], s[10:11], -v[233:234]
	;; [unrolled: 1-line block ×3, first 2 shown]
	v_add_f64_e32 v[100:101], v[213:214], v[100:101]
	v_mul_f64_e32 v[213:214], s[28:29], v[181:182]
	v_add_f64_e32 v[116:117], v[209:210], v[116:117]
	v_mul_f64_e32 v[181:182], s[22:23], v[181:182]
	v_add_f64_e32 v[122:123], v[122:123], v[163:164]
	s_delay_alu instid0(VALU_DEP_4) | instskip(SKIP_1) | instid1(VALU_DEP_4)
	v_fma_f64 v[215:216], v[177:178], s[14:15], -v[213:214]
	v_fma_f64 v[209:210], v[177:178], s[14:15], v[213:214]
	v_fma_f64 v[125:126], v[177:178], s[18:19], v[181:182]
	v_mul_f64_e32 v[213:214], s[36:37], v[231:232]
	s_delay_alu instid0(VALU_DEP_4) | instskip(SKIP_4) | instid1(VALU_DEP_4)
	v_add_f64_e32 v[102:103], v[215:216], v[102:103]
	v_mul_f64_e32 v[215:216], s[28:29], v[183:184]
	v_add_f64_e32 v[118:119], v[209:210], v[118:119]
	v_mul_f64_e32 v[183:184], s[22:23], v[183:184]
	v_add_f64_e32 v[120:121], v[125:126], v[120:121]
	v_fma_f64 v[217:218], v[179:180], s[14:15], v[215:216]
	v_fma_f64 v[209:210], v[179:180], s[14:15], -v[215:216]
	s_delay_alu instid0(VALU_DEP_4) | instskip(NEXT) | instid1(VALU_DEP_3)
	v_fma_f64 v[127:128], v[179:180], s[18:19], -v[183:184]
	v_add_f64_e32 v[100:101], v[217:218], v[100:101]
	v_mul_f64_e32 v[217:218], s[30:31], v[189:190]
	s_delay_alu instid0(VALU_DEP_4) | instskip(SKIP_2) | instid1(VALU_DEP_4)
	v_add_f64_e32 v[116:117], v[209:210], v[116:117]
	v_mul_f64_e32 v[189:190], s[34:35], v[189:190]
	v_add_f64_e32 v[122:123], v[127:128], v[122:123]
	v_fma_f64 v[219:220], v[185:186], s[26:27], -v[217:218]
	v_fma_f64 v[209:210], v[185:186], s[26:27], v[217:218]
	s_delay_alu instid0(VALU_DEP_4) | instskip(NEXT) | instid1(VALU_DEP_3)
	v_fma_f64 v[129:130], v[185:186], s[14:15], v[189:190]
	v_add_f64_e32 v[102:103], v[219:220], v[102:103]
	v_mul_f64_e32 v[219:220], s[30:31], v[191:192]
	s_delay_alu instid0(VALU_DEP_4) | instskip(SKIP_2) | instid1(VALU_DEP_4)
	v_add_f64_e32 v[118:119], v[209:210], v[118:119]
	v_mul_f64_e32 v[191:192], s[34:35], v[191:192]
	v_add_f64_e32 v[120:121], v[129:130], v[120:121]
	v_fma_f64 v[221:222], v[187:188], s[26:27], v[219:220]
	v_fma_f64 v[209:210], v[187:188], s[26:27], -v[219:220]
	s_delay_alu instid0(VALU_DEP_4) | instskip(NEXT) | instid1(VALU_DEP_3)
	v_fma_f64 v[131:132], v[187:188], s[14:15], -v[191:192]
	v_add_f64_e32 v[100:101], v[221:222], v[100:101]
	v_mul_f64_e32 v[221:222], s[24:25], v[197:198]
	s_delay_alu instid0(VALU_DEP_4)
	v_add_f64_e32 v[116:117], v[209:210], v[116:117]
	v_mul_f64_e32 v[197:198], s[20:21], v[197:198]
	v_add_f64_e32 v[122:123], v[131:132], v[122:123]
	v_fma_f64 v[131:132], v[203:204], s[2:3], -v[213:214]
	v_fma_f64 v[223:224], v[193:194], s[16:17], -v[221:222]
	v_fma_f64 v[209:210], v[193:194], s[16:17], v[221:222]
	v_fma_f64 v[125:126], v[193:194], s[10:11], v[197:198]
	s_delay_alu instid0(VALU_DEP_3) | instskip(SKIP_1) | instid1(VALU_DEP_4)
	v_add_f64_e32 v[102:103], v[223:224], v[102:103]
	v_mul_f64_e32 v[223:224], s[24:25], v[199:200]
	v_add_f64_e32 v[118:119], v[209:210], v[118:119]
	v_mul_f64_e32 v[199:200], s[20:21], v[199:200]
	v_add_f64_e32 v[120:121], v[125:126], v[120:121]
	s_delay_alu instid0(VALU_DEP_4) | instskip(SKIP_1) | instid1(VALU_DEP_4)
	v_fma_f64 v[209:210], v[195:196], s[16:17], -v[223:224]
	v_fma_f64 v[225:226], v[195:196], s[16:17], v[223:224]
	v_fma_f64 v[127:128], v[195:196], s[10:11], -v[199:200]
	s_delay_alu instid0(VALU_DEP_3) | instskip(SKIP_1) | instid1(VALU_DEP_4)
	v_add_f64_e32 v[209:210], v[209:210], v[116:117]
	v_fma_f64 v[116:117], v[201:202], s[10:11], v[229:230]
	v_add_f64_e32 v[225:226], v[225:226], v[100:101]
	v_fma_f64 v[100:101], v[201:202], s[10:11], -v[229:230]
	v_add_f64_e32 v[122:123], v[127:128], v[122:123]
	s_delay_alu instid0(VALU_DEP_4)
	v_add_f64_e32 v[116:117], v[116:117], v[118:119]
	v_add_f64_e32 v[118:119], v[211:212], v[209:210]
	v_fma_f64 v[209:210], v[169:170], s[16:17], -v[173:174]
	v_mul_f64_e32 v[211:212], s[36:37], v[227:228]
	v_add_f64_e32 v[100:101], v[100:101], v[102:103]
	v_fma_f64 v[102:103], v[203:204], s[10:11], v[233:234]
	v_add_f64_e32 v[122:123], v[131:132], v[122:123]
	v_add_f64_e32 v[114:115], v[209:210], v[114:115]
	v_fma_f64 v[209:210], v[171:172], s[16:17], v[175:176]
	v_fma_f64 v[129:130], v[201:202], s[2:3], v[211:212]
	v_add_f64_e32 v[102:103], v[102:103], v[225:226]
	s_delay_alu instid0(VALU_DEP_3) | instskip(SKIP_1) | instid1(VALU_DEP_4)
	v_add_f64_e32 v[112:113], v[209:210], v[112:113]
	v_fma_f64 v[209:210], v[177:178], s[18:19], -v[181:182]
	v_add_f64_e32 v[120:121], v[129:130], v[120:121]
	s_delay_alu instid0(VALU_DEP_2) | instskip(SKIP_1) | instid1(VALU_DEP_1)
	v_add_f64_e32 v[114:115], v[209:210], v[114:115]
	v_fma_f64 v[209:210], v[179:180], s[18:19], v[183:184]
	v_add_f64_e32 v[112:113], v[209:210], v[112:113]
	v_fma_f64 v[209:210], v[185:186], s[14:15], -v[189:190]
	s_delay_alu instid0(VALU_DEP_1) | instskip(SKIP_1) | instid1(VALU_DEP_1)
	v_add_f64_e32 v[114:115], v[209:210], v[114:115]
	v_fma_f64 v[209:210], v[187:188], s[14:15], v[191:192]
	v_add_f64_e32 v[112:113], v[209:210], v[112:113]
	v_fma_f64 v[209:210], v[193:194], s[10:11], -v[197:198]
	s_delay_alu instid0(VALU_DEP_1) | instskip(SKIP_1) | instid1(VALU_DEP_1)
	;; [unrolled: 5-line block ×3, first 2 shown]
	v_add_f64_e32 v[112:113], v[112:113], v[114:115]
	v_fma_f64 v[114:115], v[203:204], s[2:3], v[213:214]
	v_add_f64_e32 v[114:115], v[114:115], v[209:210]
	s_and_saveexec_b32 s1, s0
	s_cbranch_execz .LBB0_11
; %bb.10:
	ds_store_b128 v206, v[104:107]
	ds_store_b128 v206, v[88:91] offset:1008
	ds_store_b128 v206, v[92:95] offset:2016
	;; [unrolled: 1-line block ×12, first 2 shown]
.LBB0_11:
	s_wait_alu 0xfffe
	s_or_b32 exec_lo, exec_lo, s1
	global_wb scope:SCOPE_SE
	s_wait_dscnt 0x0
	s_barrier_signal -1
	s_barrier_wait -1
	global_inv scope:SCOPE_SE
	s_and_saveexec_b32 s1, vcc_lo
	s_cbranch_execz .LBB0_13
; %bb.12:
	s_add_nc_u64 s[2:3], s[12:13], 0x3330
	s_clause 0x8
	global_load_b128 v[125:128], v206, s[12:13] offset:13104
	global_load_b128 v[129:132], v206, s[2:3] offset:1456
	;; [unrolled: 1-line block ×9, first 2 shown]
	ds_load_b128 v[161:164], v206
	ds_load_b128 v[165:168], v206 offset:1456
	ds_load_b128 v[169:172], v206 offset:2912
	;; [unrolled: 1-line block ×8, first 2 shown]
	s_wait_loadcnt_dscnt 0x808
	v_mul_f64_e32 v[197:198], v[163:164], v[127:128]
	v_mul_f64_e32 v[127:128], v[161:162], v[127:128]
	s_wait_loadcnt_dscnt 0x707
	v_mul_f64_e32 v[199:200], v[167:168], v[131:132]
	v_mul_f64_e32 v[131:132], v[165:166], v[131:132]
	;; [unrolled: 3-line block ×9, first 2 shown]
	v_fma_f64 v[159:160], v[161:162], v[125:126], -v[197:198]
	v_fma_f64 v[161:162], v[163:164], v[125:126], v[127:128]
	v_fma_f64 v[125:126], v[165:166], v[129:130], -v[199:200]
	v_fma_f64 v[127:128], v[167:168], v[129:130], v[131:132]
	;; [unrolled: 2-line block ×9, first 2 shown]
	ds_store_b128 v206, v[159:162]
	ds_store_b128 v206, v[125:128] offset:1456
	ds_store_b128 v206, v[129:132] offset:2912
	;; [unrolled: 1-line block ×8, first 2 shown]
.LBB0_13:
	s_wait_alu 0xfffe
	s_or_b32 exec_lo, exec_lo, s1
	global_wb scope:SCOPE_SE
	s_wait_dscnt 0x0
	s_barrier_signal -1
	s_barrier_wait -1
	global_inv scope:SCOPE_SE
	s_and_saveexec_b32 s1, vcc_lo
	s_cbranch_execz .LBB0_15
; %bb.14:
	ds_load_b128 v[104:107], v206
	ds_load_b128 v[88:91], v206 offset:1456
	ds_load_b128 v[92:95], v206 offset:2912
	ds_load_b128 v[108:111], v206 offset:4368
	ds_load_b128 v[96:99], v206 offset:5824
	ds_load_b128 v[100:103], v206 offset:7280
	ds_load_b128 v[112:115], v206 offset:8736
	ds_load_b128 v[120:123], v206 offset:10192
	ds_load_b128 v[116:119], v206 offset:11648
.LBB0_15:
	s_wait_alu 0xfffe
	s_or_b32 exec_lo, exec_lo, s1
	s_wait_dscnt 0x0
	v_add_f64_e64 v[127:128], v[88:89], -v[116:117]
	v_add_f64_e64 v[125:126], v[90:91], -v[118:119]
	v_add_f64_e32 v[116:117], v[88:89], v[116:117]
	v_add_f64_e32 v[118:119], v[90:91], v[118:119]
	v_add_f64_e64 v[131:132], v[96:97], -v[100:101]
	v_add_f64_e64 v[129:130], v[98:99], -v[102:103]
	v_add_f64_e32 v[133:134], v[96:97], v[100:101]
	v_add_f64_e32 v[135:136], v[98:99], v[102:103]
	s_mov_b32 s20, 0xa2cf5039
	s_mov_b32 s15, 0x3fe491b7
	;; [unrolled: 1-line block ×4, first 2 shown]
	v_add_f64_e32 v[137:138], v[92:93], v[120:121]
	v_add_f64_e32 v[143:144], v[94:95], v[122:123]
	v_add_f64_e64 v[120:121], v[92:93], -v[120:121]
	v_add_f64_e64 v[122:123], v[94:95], -v[122:123]
	s_mov_b32 s24, 0x8c811c17
	s_mov_b32 s22, 0x7e0b738b
	;; [unrolled: 1-line block ×4, first 2 shown]
	v_add_f64_e32 v[139:140], v[108:109], v[112:113]
	v_add_f64_e32 v[141:142], v[110:111], v[114:115]
	v_add_f64_e64 v[145:146], v[108:109], -v[112:113]
	v_add_f64_e64 v[147:148], v[110:111], -v[114:115]
	s_mov_b32 s2, 0xe8584cab
	s_mov_b32 s3, 0x3febb67a
	;; [unrolled: 1-line block ×3, first 2 shown]
	s_wait_alu 0xfffe
	s_mov_b32 s10, s2
	s_mov_b32 s16, 0x748a0bf8
	;; [unrolled: 1-line block ×5, first 2 shown]
	global_wb scope:SCOPE_SE
	s_barrier_signal -1
	s_barrier_wait -1
	global_inv scope:SCOPE_SE
	v_mul_f64_e32 v[88:89], s[14:15], v[127:128]
	v_mul_f64_e32 v[90:91], s[14:15], v[125:126]
	v_fma_f64 v[92:93], v[116:117], s[20:21], v[104:105]
	v_fma_f64 v[94:95], v[118:119], s[20:21], v[106:107]
	v_mul_f64_e32 v[149:150], s[14:15], v[131:132]
	v_mul_f64_e32 v[151:152], s[14:15], v[129:130]
	v_fma_f64 v[153:154], v[133:134], s[20:21], v[104:105]
	v_fma_f64 v[155:156], v[135:136], s[20:21], v[106:107]
	;; [unrolled: 1-line block ×6, first 2 shown]
	v_fma_f64 v[108:109], v[127:128], s[24:25], -v[149:150]
	v_fma_f64 v[110:111], v[125:126], s[24:25], -v[151:152]
	v_fma_f64 v[112:113], v[116:117], s[22:23], v[153:154]
	v_fma_f64 v[114:115], v[118:119], s[22:23], v[155:156]
	;; [unrolled: 1-line block ×4, first 2 shown]
	v_fma_f64 v[92:93], v[139:140], -0.5, v[92:93]
	v_fma_f64 v[94:95], v[141:142], -0.5, v[94:95]
	s_wait_alu 0xfffe
	v_fma_f64 v[108:109], v[145:146], s[10:11], v[108:109]
	v_fma_f64 v[110:111], v[147:148], s[10:11], v[110:111]
	v_fma_f64 v[112:113], v[139:140], -0.5, v[112:113]
	v_fma_f64 v[114:115], v[141:142], -0.5, v[114:115]
	v_fma_f64 v[149:150], v[131:132], s[16:17], v[88:89]
	v_fma_f64 v[88:89], v[129:130], s[16:17], v[90:91]
	;; [unrolled: 1-line block ×8, first 2 shown]
	v_add_f64_e64 v[108:109], v[90:91], -v[88:89]
	v_add_f64_e32 v[110:111], v[149:150], v[92:93]
	s_delay_alu instid0(VALU_DEP_4) | instskip(NEXT) | instid1(VALU_DEP_4)
	v_add_f64_e64 v[112:113], v[112:113], -v[151:152]
	v_add_f64_e32 v[114:115], v[94:95], v[114:115]
	s_delay_alu instid0(VALU_DEP_4) | instskip(NEXT) | instid1(VALU_DEP_4)
	v_fma_f64 v[88:89], v[88:89], 2.0, v[108:109]
	v_fma_f64 v[90:91], v[149:150], -2.0, v[110:111]
	s_delay_alu instid0(VALU_DEP_4) | instskip(NEXT) | instid1(VALU_DEP_4)
	v_fma_f64 v[92:93], v[151:152], 2.0, v[112:113]
	v_fma_f64 v[94:95], v[94:95], -2.0, v[114:115]
	s_and_saveexec_b32 s1, vcc_lo
	s_cbranch_execz .LBB0_17
; %bb.16:
	v_mul_f64_e32 v[149:150], s[24:25], v[131:132]
	v_fma_f64 v[151:152], v[143:144], s[20:21], v[106:107]
	v_mul_f64_e32 v[153:154], s[24:25], v[129:130]
	v_fma_f64 v[155:156], v[137:138], s[20:21], v[104:105]
	v_add_f64_e32 v[143:144], v[143:144], v[118:119]
	v_add_f64_e32 v[137:138], v[137:138], v[116:117]
	s_mov_b32 s15, 0xbfe491b7
	v_mul_f64_e32 v[145:146], s[2:3], v[145:146]
	v_mul_f64_e32 v[147:148], s[2:3], v[147:148]
	v_mul_f64_e32 v[157:158], 0.5, v[139:140]
	v_mul_f64_e32 v[159:160], 0.5, v[141:142]
	v_add_f64_e32 v[161:162], v[106:107], v[141:142]
	v_add_f64_e32 v[163:164], v[104:105], v[139:140]
	v_add_f64_e32 v[131:132], v[131:132], v[127:128]
	v_add_f64_e32 v[129:130], v[129:130], v[125:126]
	s_wait_alu 0xfffe
	v_fma_f64 v[149:150], v[120:121], s[14:15], -v[149:150]
	v_fma_f64 v[151:152], v[135:136], s[22:23], v[151:152]
	v_fma_f64 v[153:154], v[122:123], s[14:15], -v[153:154]
	v_fma_f64 v[155:156], v[133:134], s[22:23], v[155:156]
	v_add_f64_e32 v[141:142], v[141:142], v[143:144]
	v_add_f64_e32 v[139:140], v[139:140], v[137:138]
	;; [unrolled: 1-line block ×4, first 2 shown]
	v_add_f64_e64 v[120:121], v[131:132], -v[120:121]
	v_add_f64_e64 v[122:123], v[129:130], -v[122:123]
	v_add_f64_e32 v[137:138], v[145:146], v[149:150]
	v_add_f64_e64 v[143:144], v[151:152], -v[159:160]
	v_add_f64_e32 v[145:146], v[147:148], v[153:154]
	;; [unrolled: 2-line block ×3, first 2 shown]
	v_add_f64_e32 v[96:97], v[96:97], v[139:140]
	v_fma_f64 v[129:130], v[135:136], -0.5, v[161:162]
	v_fma_f64 v[131:132], v[133:134], -0.5, v[163:164]
	v_mul_f64_e32 v[133:134], s[2:3], v[120:121]
	v_mul_f64_e32 v[135:136], s[2:3], v[122:123]
	v_fma_f64 v[127:128], v[127:128], s[16:17], v[137:138]
	v_fma_f64 v[118:119], v[118:119], s[18:19], v[143:144]
	;; [unrolled: 1-line block ×4, first 2 shown]
	v_add_f64_e32 v[137:138], v[102:103], v[98:99]
	v_add_f64_e32 v[139:140], v[100:101], v[96:97]
	v_fma_f64 v[98:99], v[120:121], s[2:3], v[129:130]
	v_fma_f64 v[96:97], v[122:123], s[10:11], v[131:132]
	v_add_f64_e32 v[102:103], v[127:128], v[118:119]
	v_add_f64_e64 v[100:101], v[116:117], -v[125:126]
	v_add_f64_e32 v[106:107], v[106:107], v[137:138]
	v_add_f64_e32 v[104:105], v[104:105], v[139:140]
	v_fma_f64 v[118:119], v[133:134], -2.0, v[98:99]
	v_fma_f64 v[116:117], v[135:136], 2.0, v[96:97]
	v_fma_f64 v[122:123], v[127:128], -2.0, v[102:103]
	v_fma_f64 v[120:121], v[125:126], 2.0, v[100:101]
	v_and_b32_e32 v125, 0xffff, v207
	s_delay_alu instid0(VALU_DEP_1)
	v_lshlrev_b32_e32 v125, 4, v125
	ds_store_b128 v125, v[112:115] offset:32
	ds_store_b128 v125, v[96:99] offset:48
	ds_store_b128 v125, v[104:107]
	ds_store_b128 v125, v[108:111] offset:16
	ds_store_b128 v125, v[116:119] offset:96
	;; [unrolled: 1-line block ×6, first 2 shown]
.LBB0_17:
	s_wait_alu 0xfffe
	s_or_b32 exec_lo, exec_lo, s1
	global_wb scope:SCOPE_SE
	s_wait_dscnt 0x0
	s_barrier_signal -1
	s_barrier_wait -1
	global_inv scope:SCOPE_SE
	ds_load_b128 v[96:99], v206 offset:1872
	ds_load_b128 v[100:103], v206 offset:3744
	;; [unrolled: 1-line block ×6, first 2 shown]
	s_mov_b32 s2, 0x37e14327
	s_mov_b32 s3, 0x3fe948f6
	;; [unrolled: 1-line block ×10, first 2 shown]
	s_wait_dscnt 0x5
	v_mul_f64_e32 v[120:121], v[10:11], v[98:99]
	v_mul_f64_e32 v[10:11], v[10:11], v[96:97]
	s_wait_dscnt 0x4
	v_mul_f64_e32 v[122:123], v[6:7], v[102:103]
	v_mul_f64_e32 v[6:7], v[6:7], v[100:101]
	;; [unrolled: 3-line block ×6, first 2 shown]
	v_fma_f64 v[96:97], v[8:9], v[96:97], v[120:121]
	v_fma_f64 v[8:9], v[8:9], v[98:99], -v[10:11]
	v_fma_f64 v[10:11], v[4:5], v[100:101], v[122:123]
	v_fma_f64 v[4:5], v[4:5], v[102:103], -v[6:7]
	;; [unrolled: 2-line block ×6, first 2 shown]
	v_add_f64_e32 v[18:19], v[96:97], v[6:7]
	v_add_f64_e32 v[98:99], v[8:9], v[12:13]
	;; [unrolled: 1-line block ×4, first 2 shown]
	v_add_f64_e64 v[10:11], v[10:11], -v[14:15]
	v_add_f64_e64 v[14:15], v[4:5], -v[24:25]
	v_add_f64_e32 v[104:105], v[26:27], v[22:23]
	v_add_f64_e32 v[106:107], v[20:21], v[16:17]
	v_add_f64_e64 v[22:23], v[22:23], -v[26:27]
	v_add_f64_e64 v[16:17], v[16:17], -v[20:21]
	;; [unrolled: 1-line block ×4, first 2 shown]
	v_add_f64_e32 v[4:5], v[100:101], v[18:19]
	v_add_f64_e32 v[6:7], v[102:103], v[98:99]
	v_add_f64_e64 v[12:13], v[18:19], -v[104:105]
	v_add_f64_e64 v[24:25], v[98:99], -v[106:107]
	;; [unrolled: 1-line block ×10, first 2 shown]
	v_add_f64_e32 v[10:11], v[22:23], v[10:11]
	v_add_f64_e32 v[14:15], v[16:17], v[14:15]
	v_add_f64_e64 v[22:23], v[20:21], -v[22:23]
	v_add_f64_e64 v[16:17], v[8:9], -v[16:17]
	v_add_f64_e32 v[104:105], v[104:105], v[4:5]
	v_add_f64_e32 v[106:107], v[106:107], v[6:7]
	ds_load_b128 v[4:7], v206
	global_wb scope:SCOPE_SE
	s_wait_dscnt 0x0
	s_wait_alu 0xfffe
	v_mul_f64_e32 v[12:13], s[2:3], v[12:13]
	v_mul_f64_e32 v[24:25], s[2:3], v[24:25]
	s_mov_b32 s2, 0x429ad128
	v_mul_f64_e32 v[100:101], s[10:11], v[26:27]
	v_mul_f64_e32 v[102:103], s[10:11], v[96:97]
	;; [unrolled: 1-line block ×4, first 2 shown]
	s_mov_b32 s3, 0xbfebfeb5
	s_mov_b32 s14, 0xaaaaaaaa
	s_wait_alu 0xfffe
	v_mul_f64_e32 v[116:117], s[2:3], v[112:113]
	v_mul_f64_e32 v[118:119], s[2:3], v[114:115]
	s_mov_b32 s15, 0xbff2aaaa
	v_add_f64_e32 v[10:11], v[10:11], v[20:21]
	v_add_f64_e32 v[8:9], v[14:15], v[8:9]
	s_barrier_signal -1
	s_barrier_wait -1
	global_inv scope:SCOPE_SE
	v_add_f64_e32 v[4:5], v[4:5], v[104:105]
	v_add_f64_e32 v[6:7], v[6:7], v[106:107]
	v_fma_f64 v[14:15], v[26:27], s[10:11], v[12:13]
	v_fma_f64 v[20:21], v[96:97], s[10:11], v[24:25]
	v_fma_f64 v[26:27], v[18:19], s[16:17], -v[100:101]
	v_fma_f64 v[96:97], v[98:99], s[16:17], -v[102:103]
	s_mov_b32 s17, 0xbfe77f67
	v_fma_f64 v[100:101], v[22:23], s[18:19], v[108:109]
	v_fma_f64 v[102:103], v[16:17], s[18:19], v[110:111]
	s_mov_b32 s19, 0x3fd5d0dc
	v_fma_f64 v[108:109], v[112:113], s[2:3], -v[108:109]
	v_fma_f64 v[110:111], v[114:115], s[2:3], -v[110:111]
	s_wait_alu 0xfffe
	v_fma_f64 v[22:23], v[22:23], s[18:19], -v[116:117]
	v_fma_f64 v[16:17], v[16:17], s[18:19], -v[118:119]
	v_fma_f64 v[12:13], v[18:19], s[16:17], -v[12:13]
	v_fma_f64 v[18:19], v[98:99], s[16:17], -v[24:25]
	s_mov_b32 s2, 0x37c3f68c
	s_mov_b32 s3, 0xbfdc38aa
	v_fma_f64 v[104:105], v[104:105], s[14:15], v[4:5]
	v_fma_f64 v[106:107], v[106:107], s[14:15], v[6:7]
	s_wait_alu 0xfffe
	v_fma_f64 v[98:99], v[10:11], s[2:3], v[100:101]
	v_fma_f64 v[100:101], v[8:9], s[2:3], v[102:103]
	;; [unrolled: 1-line block ×6, first 2 shown]
	v_add_f64_e32 v[112:113], v[14:15], v[104:105]
	v_add_f64_e32 v[114:115], v[20:21], v[106:107]
	;; [unrolled: 1-line block ×7, first 2 shown]
	v_add_f64_e64 v[14:15], v[114:115], -v[98:99]
	v_add_f64_e32 v[8:9], v[110:111], v[116:117]
	v_add_f64_e64 v[10:11], v[118:119], -v[108:109]
	v_add_f64_e64 v[16:17], v[20:21], -v[102:103]
	v_add_f64_e32 v[18:19], v[24:25], v[22:23]
	v_add_f64_e32 v[20:21], v[102:103], v[20:21]
	v_add_f64_e64 v[22:23], v[22:23], -v[24:25]
	v_add_f64_e64 v[24:25], v[116:117], -v[110:111]
	v_add_f64_e32 v[26:27], v[108:109], v[118:119]
	v_add_f64_e64 v[96:97], v[112:113], -v[100:101]
	v_add_f64_e32 v[98:99], v[98:99], v[114:115]
	ds_store_b128 v208, v[4:7]
	ds_store_b128 v208, v[12:15] offset:144
	ds_store_b128 v208, v[8:11] offset:288
	;; [unrolled: 1-line block ×6, first 2 shown]
	global_wb scope:SCOPE_SE
	s_wait_dscnt 0x0
	s_barrier_signal -1
	s_barrier_wait -1
	global_inv scope:SCOPE_SE
	s_and_saveexec_b32 s1, s0
	s_cbranch_execz .LBB0_19
; %bb.18:
	ds_load_b128 v[4:7], v206
	ds_load_b128 v[12:15], v206 offset:1008
	ds_load_b128 v[8:11], v206 offset:2016
	;; [unrolled: 1-line block ×12, first 2 shown]
.LBB0_19:
	s_wait_alu 0xfffe
	s_or_b32 exec_lo, exec_lo, s1
	s_and_saveexec_b32 s33, s0
	s_cbranch_execz .LBB0_21
; %bb.20:
	s_wait_dscnt 0xb
	v_mul_f64_e32 v[100:101], v[2:3], v[14:15]
	s_wait_dscnt 0x0
	v_mul_f64_e32 v[102:103], v[34:35], v[74:75]
	v_mul_f64_e32 v[104:105], v[2:3], v[12:13]
	;; [unrolled: 1-line block ×23, first 2 shown]
	s_mov_b32 s26, 0x4bc48dbf
	s_mov_b32 s27, 0xbfcea1e5
	;; [unrolled: 1-line block ×14, first 2 shown]
	v_fma_f64 v[62:63], v[0:1], v[12:13], v[100:101]
	v_fma_f64 v[2:3], v[32:33], v[72:73], v[102:103]
	v_fma_f64 v[70:71], v[0:1], v[14:15], -v[104:105]
	v_fma_f64 v[0:1], v[32:33], v[74:75], -v[34:35]
	v_fma_f64 v[34:35], v[56:57], v[96:97], v[106:107]
	v_fma_f64 v[30:31], v[68:69], v[92:93], v[108:109]
	v_fma_f64 v[38:39], v[56:57], v[98:99], -v[58:59]
	v_fma_f64 v[32:33], v[68:69], v[94:95], -v[110:111]
	v_fma_f64 v[42:43], v[48:49], v[24:25], v[112:113]
	v_fma_f64 v[46:47], v[48:49], v[26:27], -v[50:51]
	v_fma_f64 v[48:49], v[44:45], v[20:21], v[116:117]
	v_fma_f64 v[20:21], v[64:65], v[84:85], v[118:119]
	;; [unrolled: 1-line block ×4, first 2 shown]
	v_fma_f64 v[16:17], v[64:65], v[86:87], -v[133:134]
	v_fma_f64 v[56:57], v[40:41], v[18:19], -v[135:136]
	;; [unrolled: 1-line block ×5, first 2 shown]
	v_fma_f64 v[66:67], v[28:29], v[8:9], v[125:126]
	v_fma_f64 v[8:9], v[36:37], v[76:77], v[127:128]
	;; [unrolled: 1-line block ×3, first 2 shown]
	v_fma_f64 v[26:27], v[52:53], v[90:91], -v[129:130]
	v_fma_f64 v[44:45], v[44:45], v[22:23], -v[131:132]
	s_mov_b32 s29, 0xbfedeba7
	s_mov_b32 s17, 0x3fec55a7
	;; [unrolled: 1-line block ×7, first 2 shown]
	s_wait_alu 0xfffe
	s_mov_b32 s34, s20
	s_mov_b32 s37, 0xbfefc445
	;; [unrolled: 1-line block ×7, first 2 shown]
	v_add_f64_e32 v[76:77], v[4:5], v[62:63]
	v_add_f64_e64 v[36:37], v[62:63], -v[2:3]
	v_add_f64_e32 v[74:75], v[6:7], v[70:71]
	v_add_f64_e64 v[40:41], v[70:71], -v[0:1]
	v_add_f64_e32 v[90:91], v[62:63], v[2:3]
	v_add_f64_e32 v[84:85], v[70:71], v[0:1]
	v_add_f64_e64 v[18:19], v[34:35], -v[30:31]
	v_add_f64_e64 v[22:23], v[38:39], -v[32:33]
	s_mov_b32 s3, 0x3fe22d96
	s_mov_b32 s43, 0x3fcea1e5
	;; [unrolled: 1-line block ×3, first 2 shown]
	v_add_f64_e64 v[58:59], v[48:49], -v[20:21]
	v_add_f64_e32 v[98:99], v[48:49], v[20:21]
	v_add_f64_e64 v[50:51], v[54:55], -v[12:13]
	v_add_f64_e32 v[100:101], v[54:55], v[12:13]
	v_add_f64_e32 v[60:61], v[38:39], v[32:33]
	v_add_f64_e64 v[80:81], v[56:57], -v[14:15]
	v_add_f64_e32 v[92:93], v[56:57], v[14:15]
	v_add_f64_e64 v[82:83], v[64:65], -v[10:11]
	v_add_f64_e32 v[96:97], v[64:65], v[10:11]
	v_add_f64_e64 v[52:53], v[66:67], -v[8:9]
	v_add_f64_e32 v[104:105], v[66:67], v[8:9]
	v_add_f64_e64 v[28:29], v[42:43], -v[24:25]
	v_add_f64_e64 v[68:69], v[46:47], -v[26:27]
	v_add_f64_e64 v[78:79], v[44:45], -v[16:17]
	v_add_f64_e32 v[88:89], v[44:45], v[16:17]
	v_add_f64_e32 v[72:73], v[42:43], v[24:25]
	;; [unrolled: 1-line block ×4, first 2 shown]
	s_mov_b32 s40, s28
	v_add_f64_e32 v[66:67], v[76:77], v[66:67]
	v_mul_f64_e32 v[86:87], s[26:27], v[36:37]
	v_add_f64_e32 v[64:65], v[74:75], v[64:65]
	v_mul_f64_e32 v[94:95], s[26:27], v[40:41]
	v_mul_f64_e32 v[102:103], s[22:23], v[36:37]
	;; [unrolled: 1-line block ×5, first 2 shown]
	s_wait_alu 0xfffe
	v_mul_f64_e32 v[181:182], s[36:37], v[36:37]
	v_mul_f64_e32 v[195:196], s[34:35], v[36:37]
	;; [unrolled: 1-line block ×19, first 2 shown]
	s_mov_b32 s31, 0xbfddbe06
	v_mul_f64_e32 v[157:158], s[38:39], v[52:53]
	s_wait_alu 0xfffe
	v_mul_f64_e32 v[36:37], s[30:31], v[36:37]
	v_mul_f64_e32 v[112:113], s[20:21], v[58:59]
	;; [unrolled: 1-line block ×9, first 2 shown]
	v_add_f64_e32 v[54:55], v[66:67], v[54:55]
	v_fma_f64 v[147:148], v[84:85], s[14:15], v[86:87]
	v_add_f64_e32 v[56:57], v[64:65], v[56:57]
	v_fma_f64 v[159:160], v[90:91], s[14:15], -v[94:95]
	v_fma_f64 v[86:87], v[84:85], s[14:15], -v[86:87]
	v_fma_f64 v[94:95], v[90:91], s[14:15], v[94:95]
	v_fma_f64 v[167:168], v[84:85], s[18:19], v[102:103]
	v_fma_f64 v[175:176], v[90:91], s[18:19], -v[110:111]
	v_mul_f64_e32 v[66:67], s[36:37], v[40:41]
	v_fma_f64 v[102:103], v[84:85], s[18:19], -v[102:103]
	v_fma_f64 v[110:111], v[90:91], s[18:19], v[110:111]
	v_mul_f64_e32 v[40:41], s[30:31], v[40:41]
	v_mul_f64_e32 v[203:204], s[28:29], v[82:83]
	v_fma_f64 v[221:222], v[92:93], s[18:19], v[114:115]
	v_fma_f64 v[114:115], v[92:93], s[18:19], -v[114:115]
	v_fma_f64 v[231:232], v[90:91], s[2:3], -v[209:210]
	v_fma_f64 v[229:230], v[100:101], s[18:19], -v[120:121]
	v_fma_f64 v[209:210], v[90:91], s[2:3], v[209:210]
	v_fma_f64 v[211:212], v[104:105], s[16:17], -v[122:123]
	v_fma_f64 v[122:123], v[104:105], s[16:17], v[122:123]
	v_fma_f64 v[207:208], v[96:97], s[16:17], v[116:117]
	v_fma_f64 v[116:117], v[96:97], s[16:17], -v[116:117]
	v_fma_f64 v[213:214], v[96:97], s[10:11], v[133:134]
	v_fma_f64 v[215:216], v[104:105], s[10:11], -v[143:144]
	v_fma_f64 v[133:134], v[96:97], s[10:11], -v[133:134]
	v_fma_f64 v[143:144], v[104:105], s[10:11], v[143:144]
	v_mul_f64_e32 v[52:53], s[34:35], v[52:53]
	v_mul_f64_e32 v[82:83], s[34:35], v[82:83]
	v_mul_f64_e32 v[108:109], s[28:29], v[28:29]
	v_mul_f64_e32 v[74:75], s[28:29], v[68:69]
	v_fma_f64 v[219:220], v[88:89], s[2:3], v[112:113]
	v_fma_f64 v[227:228], v[98:99], s[2:3], -v[76:77]
	v_fma_f64 v[112:113], v[88:89], s[2:3], -v[112:113]
	v_fma_f64 v[76:77], v[98:99], s[2:3], v[76:77]
	v_fma_f64 v[235:236], v[88:89], s[14:15], v[129:130]
	v_mul_f64_e32 v[177:178], s[40:41], v[50:51]
	v_mul_f64_e32 v[64:65], s[40:41], v[80:81]
	;; [unrolled: 1-line block ×3, first 2 shown]
	v_add_f64_e32 v[48:49], v[54:55], v[48:49]
	v_add_f64_e32 v[147:148], v[6:7], v[147:148]
	;; [unrolled: 1-line block ×8, first 2 shown]
	v_fma_f64 v[56:57], v[84:85], s[0:1], v[153:154]
	v_add_f64_e32 v[102:103], v[6:7], v[102:103]
	v_add_f64_e32 v[110:111], v[4:5], v[110:111]
	v_fma_f64 v[153:154], v[84:85], s[0:1], -v[153:154]
	v_mul_f64_e32 v[201:202], s[26:27], v[80:81]
	v_mul_f64_e32 v[50:51], s[36:37], v[50:51]
	;; [unrolled: 1-line block ×3, first 2 shown]
	v_add_f64_e32 v[231:232], v[4:5], v[231:232]
	v_mul_f64_e32 v[151:152], s[36:37], v[58:59]
	v_add_f64_e32 v[209:210], v[4:5], v[209:210]
	v_mul_f64_e32 v[163:164], s[36:37], v[78:79]
	v_mul_f64_e32 v[189:190], s[38:39], v[58:59]
	;; [unrolled: 1-line block ×3, first 2 shown]
	v_fma_f64 v[233:234], v[70:71], s[16:17], v[127:128]
	v_fma_f64 v[129:130], v[88:89], s[14:15], -v[129:130]
	v_mul_f64_e32 v[58:59], s[28:29], v[58:59]
	v_mul_f64_e32 v[78:79], s[28:29], v[78:79]
	;; [unrolled: 1-line block ×5, first 2 shown]
	v_fma_f64 v[54:55], v[70:71], s[0:1], v[108:109]
	v_fma_f64 v[108:109], v[70:71], s[0:1], -v[108:109]
	v_fma_f64 v[225:226], v[72:73], s[0:1], -v[74:75]
	v_fma_f64 v[74:75], v[72:73], s[0:1], v[74:75]
	v_mul_f64_e32 v[145:146], s[20:21], v[18:19]
	v_fma_f64 v[127:128], v[70:71], s[16:17], -v[127:128]
	v_mul_f64_e32 v[135:136], s[28:29], v[22:23]
	v_mul_f64_e32 v[106:107], s[24:25], v[18:19]
	;; [unrolled: 1-line block ×3, first 2 shown]
	v_add_f64_e32 v[42:43], v[48:49], v[42:43]
	v_add_f64_e32 v[147:148], v[207:208], v[147:148]
	;; [unrolled: 1-line block ×5, first 2 shown]
	v_fma_f64 v[116:117], v[100:101], s[18:19], v[120:121]
	v_add_f64_e32 v[94:95], v[122:123], v[94:95]
	v_fma_f64 v[120:121], v[92:93], s[2:3], v[131:132]
	v_add_f64_e32 v[122:123], v[213:214], v[167:168]
	v_fma_f64 v[211:212], v[100:101], s[2:3], -v[141:142]
	v_add_f64_e32 v[175:176], v[215:216], v[175:176]
	v_fma_f64 v[213:214], v[90:91], s[0:1], -v[171:172]
	v_fma_f64 v[171:172], v[90:91], s[0:1], v[171:172]
	v_fma_f64 v[46:47], v[84:85], s[10:11], v[181:182]
	v_fma_f64 v[215:216], v[90:91], s[10:11], -v[66:67]
	v_fma_f64 v[48:49], v[84:85], s[10:11], -v[181:182]
	v_fma_f64 v[66:67], v[90:91], s[10:11], v[66:67]
	v_fma_f64 v[181:182], v[84:85], s[2:3], v[195:196]
	v_fma_f64 v[195:196], v[84:85], s[2:3], -v[195:196]
	v_fma_f64 v[207:208], v[96:97], s[18:19], v[157:158]
	v_add_f64_e32 v[56:57], v[6:7], v[56:57]
	v_fma_f64 v[131:132], v[92:93], s[2:3], -v[131:132]
	v_fma_f64 v[141:142], v[100:101], s[2:3], v[141:142]
	v_add_f64_e32 v[102:103], v[133:134], v[102:103]
	v_add_f64_e32 v[110:111], v[143:144], v[110:111]
	v_fma_f64 v[157:158], v[96:97], s[18:19], -v[157:158]
	v_add_f64_e32 v[153:154], v[6:7], v[153:154]
	v_fma_f64 v[143:144], v[72:73], s[16:17], -v[137:138]
	v_fma_f64 v[137:138], v[72:73], s[16:17], v[137:138]
	v_fma_f64 v[167:168], v[60:61], s[0:1], v[125:126]
	v_fma_f64 v[133:134], v[62:63], s[0:1], -v[135:136]
	v_fma_f64 v[217:218], v[60:61], s[10:11], v[106:107]
	v_fma_f64 v[223:224], v[62:63], s[10:11], -v[118:119]
	v_fma_f64 v[106:107], v[60:61], s[10:11], -v[106:107]
	v_add_f64_e32 v[34:35], v[42:43], v[34:35]
	v_add_f64_e32 v[147:148], v[221:222], v[147:148]
	;; [unrolled: 1-line block ×4, first 2 shown]
	v_fma_f64 v[229:230], v[84:85], s[16:17], v[36:37]
	v_fma_f64 v[36:37], v[84:85], s[16:17], -v[36:37]
	v_fma_f64 v[44:45], v[90:91], s[16:17], v[40:41]
	v_add_f64_e32 v[86:87], v[114:115], v[86:87]
	v_add_f64_e32 v[94:95], v[116:117], v[94:95]
	;; [unrolled: 1-line block ×3, first 2 shown]
	v_fma_f64 v[40:41], v[90:91], s[16:17], -v[40:41]
	v_fma_f64 v[221:222], v[98:99], s[14:15], -v[139:140]
	;; [unrolled: 1-line block ×3, first 2 shown]
	v_fma_f64 v[169:170], v[104:105], s[18:19], v[169:170]
	v_add_f64_e32 v[175:176], v[211:212], v[175:176]
	v_fma_f64 v[211:212], v[96:97], s[14:15], v[179:180]
	v_fma_f64 v[84:85], v[104:105], s[14:15], -v[185:186]
	v_fma_f64 v[179:180], v[96:97], s[14:15], -v[179:180]
	v_fma_f64 v[185:186], v[104:105], s[14:15], v[185:186]
	v_fma_f64 v[42:43], v[96:97], s[0:1], v[193:194]
	v_add_f64_e32 v[90:91], v[4:5], v[213:214]
	v_fma_f64 v[213:214], v[104:105], s[0:1], -v[203:204]
	v_fma_f64 v[193:194], v[96:97], s[0:1], -v[193:194]
	v_add_f64_e32 v[171:172], v[4:5], v[171:172]
	v_fma_f64 v[203:204], v[104:105], s[0:1], v[203:204]
	v_add_f64_e32 v[46:47], v[6:7], v[46:47]
	v_add_f64_e32 v[215:216], v[4:5], v[215:216]
	;; [unrolled: 1-line block ×7, first 2 shown]
	v_fma_f64 v[207:208], v[96:97], s[2:3], v[52:53]
	v_fma_f64 v[52:53], v[96:97], s[2:3], -v[52:53]
	v_fma_f64 v[139:140], v[98:99], s[14:15], v[139:140]
	v_fma_f64 v[116:117], v[92:93], s[16:17], v[155:156]
	v_add_f64_e32 v[102:103], v[131:132], v[102:103]
	v_add_f64_e32 v[110:111], v[141:142], v[110:111]
	;; [unrolled: 1-line block ×3, first 2 shown]
	v_fma_f64 v[141:142], v[100:101], s[16:17], -v[165:166]
	v_add_f64_e32 v[32:33], v[38:39], v[32:33]
	v_fma_f64 v[155:156], v[92:93], s[16:17], -v[155:156]
	v_add_f64_e32 v[229:230], v[6:7], v[229:230]
	v_add_f64_e32 v[6:7], v[6:7], v[36:37]
	v_fma_f64 v[36:37], v[104:105], s[2:3], v[82:83]
	v_add_f64_e32 v[44:45], v[4:5], v[44:45]
	v_add_f64_e32 v[86:87], v[112:113], v[86:87]
	;; [unrolled: 1-line block ×4, first 2 shown]
	v_fma_f64 v[120:121], v[104:105], s[2:3], -v[82:83]
	v_add_f64_e32 v[4:5], v[4:5], v[40:41]
	v_fma_f64 v[165:166], v[100:101], s[16:17], v[165:166]
	v_add_f64_e32 v[112:113], v[221:222], v[175:176]
	v_fma_f64 v[34:35], v[92:93], s[0:1], v[177:178]
	v_fma_f64 v[40:41], v[100:101], s[0:1], -v[64:65]
	v_add_f64_e32 v[82:83], v[157:158], v[153:154]
	v_fma_f64 v[64:65], v[100:101], s[0:1], v[64:65]
	v_fma_f64 v[104:105], v[92:93], s[14:15], v[191:192]
	v_add_f64_e32 v[38:39], v[122:123], v[90:91]
	v_fma_f64 v[90:91], v[92:93], s[0:1], -v[177:178]
	v_fma_f64 v[153:154], v[92:93], s[14:15], -v[191:192]
	v_add_f64_e32 v[96:97], v[169:170], v[171:172]
	v_fma_f64 v[157:158], v[100:101], s[14:15], v[201:202]
	v_add_f64_e32 v[46:47], v[211:212], v[46:47]
	v_add_f64_e32 v[84:85], v[84:85], v[215:216]
	;; [unrolled: 1-line block ×7, first 2 shown]
	v_fma_f64 v[122:123], v[100:101], s[14:15], -v[201:202]
	v_add_f64_e32 v[171:172], v[213:214], v[231:232]
	v_add_f64_e32 v[147:148], v[219:220], v[147:148]
	v_fma_f64 v[169:170], v[92:93], s[10:11], v[50:51]
	v_fma_f64 v[50:51], v[92:93], s[10:11], -v[50:51]
	v_fma_f64 v[131:132], v[88:89], s[10:11], v[151:152]
	v_add_f64_e32 v[24:25], v[30:31], v[24:25]
	v_add_f64_e32 v[56:57], v[116:117], v[56:57]
	;; [unrolled: 1-line block ×6, first 2 shown]
	v_fma_f64 v[52:53], v[100:101], s[10:11], v[80:81]
	v_add_f64_e32 v[36:37], v[36:37], v[44:45]
	v_add_f64_e32 v[86:87], v[108:109], v[86:87]
	v_fma_f64 v[108:109], v[100:101], s[10:11], -v[80:81]
	v_add_f64_e32 v[110:111], v[139:140], v[110:111]
	v_add_f64_e32 v[74:75], v[74:75], v[76:77]
	;; [unrolled: 1-line block ×5, first 2 shown]
	v_fma_f64 v[30:31], v[98:99], s[10:11], -v[163:164]
	v_fma_f64 v[80:81], v[98:99], s[10:11], v[163:164]
	v_add_f64_e32 v[44:45], v[155:156], v[82:83]
	v_mul_f64_e32 v[92:93], s[34:35], v[28:29]
	v_fma_f64 v[100:101], v[98:99], s[16:17], -v[183:184]
	v_add_f64_e32 v[32:33], v[141:142], v[38:39]
	v_fma_f64 v[38:39], v[88:89], s[10:11], -v[151:152]
	v_fma_f64 v[112:113], v[88:89], s[18:19], v[189:190]
	v_add_f64_e32 v[82:83], v[165:166], v[96:97]
	v_fma_f64 v[96:97], v[88:89], s[16:17], v[173:174]
	v_add_f64_e32 v[34:35], v[34:35], v[46:47]
	v_mul_f64_e32 v[46:47], s[34:35], v[68:69]
	v_add_f64_e32 v[40:41], v[40:41], v[84:85]
	v_fma_f64 v[84:85], v[88:89], s[16:17], -v[173:174]
	v_add_f64_e32 v[48:49], v[90:91], v[48:49]
	v_fma_f64 v[90:91], v[98:99], s[16:17], v[183:184]
	v_add_f64_e32 v[64:65], v[64:65], v[66:67]
	v_mul_f64_e32 v[66:67], s[24:25], v[28:29]
	v_add_f64_e32 v[42:43], v[104:105], v[42:43]
	v_mul_f64_e32 v[104:105], s[24:25], v[68:69]
	v_fma_f64 v[129:130], v[88:89], s[18:19], -v[189:190]
	v_add_f64_e32 v[139:140], v[153:154], v[175:176]
	v_fma_f64 v[141:142], v[98:99], s[18:19], v[199:200]
	v_add_f64_e32 v[143:144], v[157:158], v[177:178]
	v_fma_f64 v[120:121], v[98:99], s[18:19], -v[199:200]
	v_add_f64_e32 v[122:123], v[122:123], v[171:172]
	v_add_f64_e32 v[54:55], v[54:55], v[147:148]
	v_mul_f64_e32 v[28:29], s[22:23], v[28:29]
	v_fma_f64 v[147:148], v[88:89], s[0:1], v[58:59]
	v_mul_f64_e32 v[68:69], s[22:23], v[68:69]
	v_fma_f64 v[58:59], v[88:89], s[0:1], -v[58:59]
	v_add_f64_e32 v[6:7], v[50:51], v[6:7]
	v_fma_f64 v[50:51], v[98:99], s[0:1], v[78:79]
	v_add_f64_e32 v[36:37], v[52:53], v[36:37]
	v_add_f64_e32 v[151:152], v[169:170], v[179:180]
	;; [unrolled: 1-line block ×4, first 2 shown]
	v_fma_f64 v[153:154], v[98:99], s[0:1], -v[78:79]
	v_add_f64_e32 v[4:5], v[108:109], v[4:5]
	v_add_f64_e32 v[24:25], v[131:132], v[56:57]
	v_mul_f64_e32 v[26:27], s[20:21], v[22:23]
	v_fma_f64 v[52:53], v[72:73], s[14:15], -v[161:162]
	v_mul_f64_e32 v[78:79], s[22:23], v[18:19]
	v_add_f64_e32 v[30:31], v[30:31], v[32:33]
	v_fma_f64 v[32:33], v[70:71], s[14:15], -v[149:150]
	v_add_f64_e32 v[38:39], v[38:39], v[44:45]
	v_fma_f64 v[44:45], v[72:73], s[14:15], v[161:162]
	v_add_f64_e32 v[56:57], v[80:81], v[82:83]
	v_fma_f64 v[80:81], v[70:71], s[2:3], v[92:93]
	v_add_f64_e32 v[34:35], v[96:97], v[34:35]
	v_mul_f64_e32 v[82:83], s[22:23], v[22:23]
	v_fma_f64 v[88:89], v[72:73], s[2:3], -v[46:47]
	v_add_f64_e32 v[40:41], v[100:101], v[40:41]
	v_fma_f64 v[92:93], v[70:71], s[2:3], -v[92:93]
	v_add_f64_e32 v[48:49], v[84:85], v[48:49]
	v_add_f64_e32 v[64:65], v[90:91], v[64:65]
	v_fma_f64 v[84:85], v[70:71], s[10:11], v[66:67]
	v_add_f64_e32 v[42:43], v[112:113], v[42:43]
	v_fma_f64 v[90:91], v[72:73], s[10:11], -v[104:105]
	v_fma_f64 v[66:67], v[70:71], s[10:11], -v[66:67]
	v_add_f64_e32 v[98:99], v[129:130], v[139:140]
	v_fma_f64 v[100:101], v[72:73], s[10:11], v[104:105]
	v_add_f64_e32 v[104:105], v[141:142], v[143:144]
	v_fma_f64 v[46:47], v[72:73], s[2:3], v[46:47]
	v_fma_f64 v[114:115], v[70:71], s[14:15], v[149:150]
	v_add_f64_e32 v[159:160], v[227:228], v[159:160]
	v_add_f64_e32 v[96:97], v[120:121], v[122:123]
	v_mul_f64_e32 v[18:19], s[26:27], v[18:19]
	v_fma_f64 v[108:109], v[70:71], s[18:19], v[28:29]
	v_mul_f64_e32 v[22:23], s[26:27], v[22:23]
	v_fma_f64 v[28:29], v[70:71], s[18:19], -v[28:29]
	v_add_f64_e32 v[6:7], v[58:59], v[6:7]
	v_fma_f64 v[58:59], v[72:73], s[18:19], v[68:69]
	v_add_f64_e32 v[36:37], v[50:51], v[36:37]
	v_add_f64_e32 v[112:113], v[147:148], v[151:152]
	;; [unrolled: 1-line block ×4, first 2 shown]
	v_fma_f64 v[120:121], v[72:73], s[18:19], -v[68:69]
	v_add_f64_e32 v[4:5], v[153:154], v[4:5]
	v_fma_f64 v[16:17], v[60:61], s[0:1], -v[125:126]
	v_add_f64_e32 v[20:21], v[127:128], v[102:103]
	;; [unrolled: 2-line block ×4, first 2 shown]
	v_add_f64_e32 v[44:45], v[44:45], v[56:57]
	v_fma_f64 v[56:57], v[60:61], s[18:19], v[78:79]
	v_add_f64_e32 v[80:81], v[80:81], v[34:35]
	v_fma_f64 v[102:103], v[62:63], s[18:19], -v[82:83]
	v_fma_f64 v[34:35], v[60:61], s[18:19], -v[78:79]
	v_add_f64_e32 v[40:41], v[88:89], v[40:41]
	v_fma_f64 v[78:79], v[62:63], s[18:19], v[82:83]
	v_add_f64_e32 v[48:49], v[92:93], v[48:49]
	v_fma_f64 v[82:83], v[60:61], s[16:17], -v[187:188]
	v_fma_f64 v[70:71], v[60:61], s[2:3], v[145:146]
	v_add_f64_e32 v[42:43], v[84:85], v[42:43]
	v_fma_f64 v[84:85], v[62:63], s[16:17], v[197:198]
	v_fma_f64 v[38:39], v[62:63], s[2:3], v[26:27]
	v_add_f64_e32 v[66:67], v[66:67], v[98:99]
	v_fma_f64 v[50:51], v[62:63], s[0:1], v[135:136]
	v_add_f64_e32 v[88:89], v[100:101], v[104:105]
	v_add_f64_e32 v[46:47], v[46:47], v[64:65]
	;; [unrolled: 1-line block ×4, first 2 shown]
	v_fma_f64 v[118:119], v[62:63], s[10:11], v[118:119]
	v_add_f64_e32 v[116:117], v[225:226], v[159:160]
	v_fma_f64 v[64:65], v[60:61], s[16:17], v[187:188]
	v_fma_f64 v[92:93], v[62:63], s[16:17], -v[197:198]
	v_add_f64_e32 v[90:91], v[90:91], v[96:97]
	v_fma_f64 v[96:97], v[60:61], s[14:15], v[18:19]
	v_fma_f64 v[100:101], v[62:63], s[14:15], -v[22:23]
	v_fma_f64 v[60:61], v[60:61], s[14:15], -v[18:19]
	v_add_f64_e32 v[104:105], v[28:29], v[6:7]
	v_fma_f64 v[62:63], v[62:63], s[14:15], v[22:23]
	v_add_f64_e32 v[58:59], v[58:59], v[36:37]
	v_add_f64_e32 v[98:99], v[108:109], v[112:113]
	;; [unrolled: 1-line block ×31, first 2 shown]
	ds_store_b128 v206, v[32:35] offset:2016
	ds_store_b128 v206, v[28:31] offset:3024
	;; [unrolled: 1-line block ×11, first 2 shown]
	ds_store_b128 v206, v[52:55]
	ds_store_b128 v206, v[44:47] offset:12096
.LBB0_21:
	s_or_b32 exec_lo, exec_lo, s33
	global_wb scope:SCOPE_SE
	s_wait_dscnt 0x0
	s_barrier_signal -1
	s_barrier_wait -1
	global_inv scope:SCOPE_SE
	s_and_b32 exec_lo, exec_lo, vcc_lo
	s_cbranch_execz .LBB0_23
; %bb.22:
	s_clause 0x8
	global_load_b128 v[0:3], v206, s[12:13]
	global_load_b128 v[4:7], v206, s[12:13] offset:1456
	global_load_b128 v[8:11], v206, s[12:13] offset:2912
	global_load_b128 v[12:15], v206, s[12:13] offset:4368
	global_load_b128 v[16:19], v206, s[12:13] offset:5824
	global_load_b128 v[20:23], v206, s[12:13] offset:7280
	global_load_b128 v[24:27], v206, s[12:13] offset:8736
	global_load_b128 v[28:31], v206, s[12:13] offset:10192
	global_load_b128 v[32:35], v206, s[12:13] offset:11648
	ds_load_b128 v[36:39], v206
	ds_load_b128 v[40:43], v206 offset:1456
	ds_load_b128 v[44:47], v206 offset:2912
	;; [unrolled: 1-line block ×8, first 2 shown]
	v_mad_co_u64_u32 v[72:73], null, s6, v124, 0
	v_mad_co_u64_u32 v[74:75], null, s4, v205, 0
	s_mov_b32 s2, 0x14014014
	s_mov_b32 s3, 0x3f540140
	s_mul_u64 s[0:1], s[4:5], 0x5b0
	s_delay_alu instid0(VALU_DEP_1) | instskip(NEXT) | instid1(VALU_DEP_1)
	v_mad_co_u64_u32 v[94:95], null, s7, v124, v[73:74]
	v_mov_b32_e32 v73, v94
	s_delay_alu instid0(VALU_DEP_1)
	v_lshlrev_b64_e32 v[72:73], 4, v[72:73]
	s_wait_loadcnt_dscnt 0x808
	v_mul_f64_e32 v[76:77], v[38:39], v[2:3]
	v_mul_f64_e32 v[2:3], v[36:37], v[2:3]
	s_wait_loadcnt_dscnt 0x707
	v_mul_f64_e32 v[78:79], v[42:43], v[6:7]
	v_mul_f64_e32 v[6:7], v[40:41], v[6:7]
	;; [unrolled: 3-line block ×9, first 2 shown]
	v_fma_f64 v[36:37], v[36:37], v[0:1], v[76:77]
	v_fma_f64 v[2:3], v[0:1], v[38:39], -v[2:3]
	v_fma_f64 v[38:39], v[40:41], v[4:5], v[78:79]
	v_fma_f64 v[6:7], v[4:5], v[42:43], -v[6:7]
	;; [unrolled: 2-line block ×9, first 2 shown]
	v_mad_co_u64_u32 v[95:96], null, s5, v205, v[75:76]
	v_add_co_u32 v0, vcc_lo, s8, v72
	v_add_co_ci_u32_e32 v1, vcc_lo, s9, v73, vcc_lo
	s_delay_alu instid0(VALU_DEP_3) | instskip(NEXT) | instid1(VALU_DEP_1)
	v_mov_b32_e32 v75, v95
	v_lshlrev_b64_e32 v[74:75], 4, v[74:75]
	s_delay_alu instid0(VALU_DEP_1) | instskip(SKIP_1) | instid1(VALU_DEP_2)
	v_add_co_u32 v54, vcc_lo, v0, v74
	s_wait_alu 0xfffd
	v_add_co_ci_u32_e32 v55, vcc_lo, v1, v75, vcc_lo
	s_wait_alu 0xfffe
	v_mul_f64_e32 v[0:1], s[2:3], v[36:37]
	v_mul_f64_e32 v[2:3], s[2:3], v[2:3]
	v_add_co_u32 v56, vcc_lo, v54, s0
	v_mul_f64_e32 v[4:5], s[2:3], v[38:39]
	v_mul_f64_e32 v[6:7], s[2:3], v[6:7]
	;; [unrolled: 1-line block ×4, first 2 shown]
	s_wait_alu 0xfffd
	v_add_co_ci_u32_e32 v57, vcc_lo, s1, v55, vcc_lo
	v_mul_f64_e32 v[12:13], s[2:3], v[42:43]
	v_mul_f64_e32 v[14:15], s[2:3], v[14:15]
	;; [unrolled: 1-line block ×6, first 2 shown]
	v_add_co_u32 v58, vcc_lo, v56, s0
	v_mul_f64_e32 v[24:25], s[2:3], v[48:49]
	v_mul_f64_e32 v[26:27], s[2:3], v[26:27]
	;; [unrolled: 1-line block ×4, first 2 shown]
	s_wait_alu 0xfffd
	v_add_co_ci_u32_e32 v59, vcc_lo, s1, v57, vcc_lo
	v_mul_f64_e32 v[32:33], s[2:3], v[52:53]
	v_mul_f64_e32 v[34:35], s[2:3], v[34:35]
	v_add_co_u32 v36, vcc_lo, v58, s0
	s_wait_alu 0xfffd
	v_add_co_ci_u32_e32 v37, vcc_lo, s1, v59, vcc_lo
	s_delay_alu instid0(VALU_DEP_2) | instskip(SKIP_1) | instid1(VALU_DEP_2)
	v_add_co_u32 v38, vcc_lo, v36, s0
	s_wait_alu 0xfffd
	v_add_co_ci_u32_e32 v39, vcc_lo, s1, v37, vcc_lo
	s_delay_alu instid0(VALU_DEP_2) | instskip(SKIP_1) | instid1(VALU_DEP_2)
	;; [unrolled: 4-line block ×5, first 2 shown]
	v_add_co_u32 v46, vcc_lo, v44, s0
	s_wait_alu 0xfffd
	v_add_co_ci_u32_e32 v47, vcc_lo, s1, v45, vcc_lo
	s_clause 0x4
	global_store_b128 v[54:55], v[0:3], off
	global_store_b128 v[56:57], v[4:7], off
	;; [unrolled: 1-line block ×9, first 2 shown]
.LBB0_23:
	s_nop 0
	s_sendmsg sendmsg(MSG_DEALLOC_VGPRS)
	s_endpgm
	.section	.rodata,"a",@progbits
	.p2align	6, 0x0
	.amdhsa_kernel bluestein_single_back_len819_dim1_dp_op_CI_CI
		.amdhsa_group_segment_fixed_size 13104
		.amdhsa_private_segment_fixed_size 0
		.amdhsa_kernarg_size 104
		.amdhsa_user_sgpr_count 2
		.amdhsa_user_sgpr_dispatch_ptr 0
		.amdhsa_user_sgpr_queue_ptr 0
		.amdhsa_user_sgpr_kernarg_segment_ptr 1
		.amdhsa_user_sgpr_dispatch_id 0
		.amdhsa_user_sgpr_private_segment_size 0
		.amdhsa_wavefront_size32 1
		.amdhsa_uses_dynamic_stack 0
		.amdhsa_enable_private_segment 0
		.amdhsa_system_sgpr_workgroup_id_x 1
		.amdhsa_system_sgpr_workgroup_id_y 0
		.amdhsa_system_sgpr_workgroup_id_z 0
		.amdhsa_system_sgpr_workgroup_info 0
		.amdhsa_system_vgpr_workitem_id 0
		.amdhsa_next_free_vgpr 237
		.amdhsa_next_free_sgpr 44
		.amdhsa_reserve_vcc 1
		.amdhsa_float_round_mode_32 0
		.amdhsa_float_round_mode_16_64 0
		.amdhsa_float_denorm_mode_32 3
		.amdhsa_float_denorm_mode_16_64 3
		.amdhsa_fp16_overflow 0
		.amdhsa_workgroup_processor_mode 1
		.amdhsa_memory_ordered 1
		.amdhsa_forward_progress 0
		.amdhsa_round_robin_scheduling 0
		.amdhsa_exception_fp_ieee_invalid_op 0
		.amdhsa_exception_fp_denorm_src 0
		.amdhsa_exception_fp_ieee_div_zero 0
		.amdhsa_exception_fp_ieee_overflow 0
		.amdhsa_exception_fp_ieee_underflow 0
		.amdhsa_exception_fp_ieee_inexact 0
		.amdhsa_exception_int_div_zero 0
	.end_amdhsa_kernel
	.text
.Lfunc_end0:
	.size	bluestein_single_back_len819_dim1_dp_op_CI_CI, .Lfunc_end0-bluestein_single_back_len819_dim1_dp_op_CI_CI
                                        ; -- End function
	.section	.AMDGPU.csdata,"",@progbits
; Kernel info:
; codeLenInByte = 13692
; NumSgprs: 46
; NumVgprs: 237
; ScratchSize: 0
; MemoryBound: 0
; FloatMode: 240
; IeeeMode: 1
; LDSByteSize: 13104 bytes/workgroup (compile time only)
; SGPRBlocks: 5
; VGPRBlocks: 29
; NumSGPRsForWavesPerEU: 46
; NumVGPRsForWavesPerEU: 237
; Occupancy: 6
; WaveLimiterHint : 1
; COMPUTE_PGM_RSRC2:SCRATCH_EN: 0
; COMPUTE_PGM_RSRC2:USER_SGPR: 2
; COMPUTE_PGM_RSRC2:TRAP_HANDLER: 0
; COMPUTE_PGM_RSRC2:TGID_X_EN: 1
; COMPUTE_PGM_RSRC2:TGID_Y_EN: 0
; COMPUTE_PGM_RSRC2:TGID_Z_EN: 0
; COMPUTE_PGM_RSRC2:TIDIG_COMP_CNT: 0
	.text
	.p2alignl 7, 3214868480
	.fill 96, 4, 3214868480
	.type	__hip_cuid_33eab7e73aa31a2e,@object ; @__hip_cuid_33eab7e73aa31a2e
	.section	.bss,"aw",@nobits
	.globl	__hip_cuid_33eab7e73aa31a2e
__hip_cuid_33eab7e73aa31a2e:
	.byte	0                               ; 0x0
	.size	__hip_cuid_33eab7e73aa31a2e, 1

	.ident	"AMD clang version 19.0.0git (https://github.com/RadeonOpenCompute/llvm-project roc-6.4.0 25133 c7fe45cf4b819c5991fe208aaa96edf142730f1d)"
	.section	".note.GNU-stack","",@progbits
	.addrsig
	.addrsig_sym __hip_cuid_33eab7e73aa31a2e
	.amdgpu_metadata
---
amdhsa.kernels:
  - .args:
      - .actual_access:  read_only
        .address_space:  global
        .offset:         0
        .size:           8
        .value_kind:     global_buffer
      - .actual_access:  read_only
        .address_space:  global
        .offset:         8
        .size:           8
        .value_kind:     global_buffer
      - .actual_access:  read_only
        .address_space:  global
        .offset:         16
        .size:           8
        .value_kind:     global_buffer
      - .actual_access:  read_only
        .address_space:  global
        .offset:         24
        .size:           8
        .value_kind:     global_buffer
      - .actual_access:  read_only
        .address_space:  global
        .offset:         32
        .size:           8
        .value_kind:     global_buffer
      - .offset:         40
        .size:           8
        .value_kind:     by_value
      - .address_space:  global
        .offset:         48
        .size:           8
        .value_kind:     global_buffer
      - .address_space:  global
        .offset:         56
        .size:           8
        .value_kind:     global_buffer
      - .address_space:  global
        .offset:         64
        .size:           8
        .value_kind:     global_buffer
      - .address_space:  global
        .offset:         72
        .size:           8
        .value_kind:     global_buffer
      - .offset:         80
        .size:           4
        .value_kind:     by_value
      - .address_space:  global
        .offset:         88
        .size:           8
        .value_kind:     global_buffer
      - .address_space:  global
        .offset:         96
        .size:           8
        .value_kind:     global_buffer
    .group_segment_fixed_size: 13104
    .kernarg_segment_align: 8
    .kernarg_segment_size: 104
    .language:       OpenCL C
    .language_version:
      - 2
      - 0
    .max_flat_workgroup_size: 117
    .name:           bluestein_single_back_len819_dim1_dp_op_CI_CI
    .private_segment_fixed_size: 0
    .sgpr_count:     46
    .sgpr_spill_count: 0
    .symbol:         bluestein_single_back_len819_dim1_dp_op_CI_CI.kd
    .uniform_work_group_size: 1
    .uses_dynamic_stack: false
    .vgpr_count:     237
    .vgpr_spill_count: 0
    .wavefront_size: 32
    .workgroup_processor_mode: 1
amdhsa.target:   amdgcn-amd-amdhsa--gfx1201
amdhsa.version:
  - 1
  - 2
...

	.end_amdgpu_metadata
